;; amdgpu-corpus repo=ROCm/rocFFT kind=compiled arch=gfx906 opt=O3
	.text
	.amdgcn_target "amdgcn-amd-amdhsa--gfx906"
	.amdhsa_code_object_version 6
	.protected	fft_rtc_fwd_len2401_factors_7_7_7_7_wgs_49_tpt_49_halfLds_half_ip_CI_unitstride_sbrr_dirReg ; -- Begin function fft_rtc_fwd_len2401_factors_7_7_7_7_wgs_49_tpt_49_halfLds_half_ip_CI_unitstride_sbrr_dirReg
	.globl	fft_rtc_fwd_len2401_factors_7_7_7_7_wgs_49_tpt_49_halfLds_half_ip_CI_unitstride_sbrr_dirReg
	.p2align	8
	.type	fft_rtc_fwd_len2401_factors_7_7_7_7_wgs_49_tpt_49_halfLds_half_ip_CI_unitstride_sbrr_dirReg,@function
fft_rtc_fwd_len2401_factors_7_7_7_7_wgs_49_tpt_49_halfLds_half_ip_CI_unitstride_sbrr_dirReg: ; @fft_rtc_fwd_len2401_factors_7_7_7_7_wgs_49_tpt_49_halfLds_half_ip_CI_unitstride_sbrr_dirReg
; %bb.0:
	s_load_dwordx2 s[2:3], s[4:5], 0x50
	s_load_dwordx4 s[8:11], s[4:5], 0x0
	s_load_dwordx2 s[12:13], s[4:5], 0x18
	v_mul_u32_u24_e32 v1, 0x53a, v0
	v_add_u32_sdwa v5, s6, v1 dst_sel:DWORD dst_unused:UNUSED_PAD src0_sel:DWORD src1_sel:WORD_1
	v_mov_b32_e32 v3, 0
	s_waitcnt lgkmcnt(0)
	v_cmp_lt_u64_e64 s[0:1], s[10:11], 2
	v_mov_b32_e32 v1, 0
	v_mov_b32_e32 v6, v3
	s_and_b64 vcc, exec, s[0:1]
	v_mov_b32_e32 v2, 0
	s_cbranch_vccnz .LBB0_8
; %bb.1:
	s_load_dwordx2 s[0:1], s[4:5], 0x10
	s_add_u32 s6, s12, 8
	s_addc_u32 s7, s13, 0
	v_mov_b32_e32 v1, 0
	v_mov_b32_e32 v2, 0
	s_waitcnt lgkmcnt(0)
	s_add_u32 s14, s0, 8
	s_addc_u32 s15, s1, 0
	s_mov_b64 s[16:17], 1
.LBB0_2:                                ; =>This Inner Loop Header: Depth=1
	s_load_dwordx2 s[18:19], s[14:15], 0x0
                                        ; implicit-def: $vgpr7_vgpr8
	s_waitcnt lgkmcnt(0)
	v_or_b32_e32 v4, s19, v6
	v_cmp_ne_u64_e32 vcc, 0, v[3:4]
	s_and_saveexec_b64 s[0:1], vcc
	s_xor_b64 s[20:21], exec, s[0:1]
	s_cbranch_execz .LBB0_4
; %bb.3:                                ;   in Loop: Header=BB0_2 Depth=1
	v_cvt_f32_u32_e32 v4, s18
	v_cvt_f32_u32_e32 v7, s19
	s_sub_u32 s0, 0, s18
	s_subb_u32 s1, 0, s19
	v_mac_f32_e32 v4, 0x4f800000, v7
	v_rcp_f32_e32 v4, v4
	v_mul_f32_e32 v4, 0x5f7ffffc, v4
	v_mul_f32_e32 v7, 0x2f800000, v4
	v_trunc_f32_e32 v7, v7
	v_mac_f32_e32 v4, 0xcf800000, v7
	v_cvt_u32_f32_e32 v7, v7
	v_cvt_u32_f32_e32 v4, v4
	v_mul_lo_u32 v8, s0, v7
	v_mul_hi_u32 v9, s0, v4
	v_mul_lo_u32 v11, s1, v4
	v_mul_lo_u32 v10, s0, v4
	v_add_u32_e32 v8, v9, v8
	v_add_u32_e32 v8, v8, v11
	v_mul_hi_u32 v9, v4, v10
	v_mul_lo_u32 v11, v4, v8
	v_mul_hi_u32 v13, v4, v8
	v_mul_hi_u32 v12, v7, v10
	v_mul_lo_u32 v10, v7, v10
	v_mul_hi_u32 v14, v7, v8
	v_add_co_u32_e32 v9, vcc, v9, v11
	v_addc_co_u32_e32 v11, vcc, 0, v13, vcc
	v_mul_lo_u32 v8, v7, v8
	v_add_co_u32_e32 v9, vcc, v9, v10
	v_addc_co_u32_e32 v9, vcc, v11, v12, vcc
	v_addc_co_u32_e32 v10, vcc, 0, v14, vcc
	v_add_co_u32_e32 v8, vcc, v9, v8
	v_addc_co_u32_e32 v9, vcc, 0, v10, vcc
	v_add_co_u32_e32 v4, vcc, v4, v8
	v_addc_co_u32_e32 v7, vcc, v7, v9, vcc
	v_mul_lo_u32 v8, s0, v7
	v_mul_hi_u32 v9, s0, v4
	v_mul_lo_u32 v10, s1, v4
	v_mul_lo_u32 v11, s0, v4
	v_add_u32_e32 v8, v9, v8
	v_add_u32_e32 v8, v8, v10
	v_mul_lo_u32 v12, v4, v8
	v_mul_hi_u32 v13, v4, v11
	v_mul_hi_u32 v14, v4, v8
	;; [unrolled: 1-line block ×3, first 2 shown]
	v_mul_lo_u32 v11, v7, v11
	v_mul_hi_u32 v9, v7, v8
	v_add_co_u32_e32 v12, vcc, v13, v12
	v_addc_co_u32_e32 v13, vcc, 0, v14, vcc
	v_mul_lo_u32 v8, v7, v8
	v_add_co_u32_e32 v11, vcc, v12, v11
	v_addc_co_u32_e32 v10, vcc, v13, v10, vcc
	v_addc_co_u32_e32 v9, vcc, 0, v9, vcc
	v_add_co_u32_e32 v8, vcc, v10, v8
	v_addc_co_u32_e32 v9, vcc, 0, v9, vcc
	v_add_co_u32_e32 v4, vcc, v4, v8
	v_addc_co_u32_e32 v9, vcc, v7, v9, vcc
	v_mad_u64_u32 v[7:8], s[0:1], v5, v9, 0
	v_mul_hi_u32 v10, v5, v4
	v_add_co_u32_e32 v11, vcc, v10, v7
	v_addc_co_u32_e32 v12, vcc, 0, v8, vcc
	v_mad_u64_u32 v[7:8], s[0:1], v6, v4, 0
	v_mad_u64_u32 v[9:10], s[0:1], v6, v9, 0
	v_add_co_u32_e32 v4, vcc, v11, v7
	v_addc_co_u32_e32 v4, vcc, v12, v8, vcc
	v_addc_co_u32_e32 v7, vcc, 0, v10, vcc
	v_add_co_u32_e32 v4, vcc, v4, v9
	v_addc_co_u32_e32 v9, vcc, 0, v7, vcc
	v_mul_lo_u32 v10, s19, v4
	v_mul_lo_u32 v11, s18, v9
	v_mad_u64_u32 v[7:8], s[0:1], s18, v4, 0
	v_add3_u32 v8, v8, v11, v10
	v_sub_u32_e32 v10, v6, v8
	v_mov_b32_e32 v11, s19
	v_sub_co_u32_e32 v7, vcc, v5, v7
	v_subb_co_u32_e64 v10, s[0:1], v10, v11, vcc
	v_subrev_co_u32_e64 v11, s[0:1], s18, v7
	v_subbrev_co_u32_e64 v10, s[0:1], 0, v10, s[0:1]
	v_cmp_le_u32_e64 s[0:1], s19, v10
	v_cndmask_b32_e64 v12, 0, -1, s[0:1]
	v_cmp_le_u32_e64 s[0:1], s18, v11
	v_cndmask_b32_e64 v11, 0, -1, s[0:1]
	v_cmp_eq_u32_e64 s[0:1], s19, v10
	v_cndmask_b32_e64 v10, v12, v11, s[0:1]
	v_add_co_u32_e64 v11, s[0:1], 2, v4
	v_addc_co_u32_e64 v12, s[0:1], 0, v9, s[0:1]
	v_add_co_u32_e64 v13, s[0:1], 1, v4
	v_addc_co_u32_e64 v14, s[0:1], 0, v9, s[0:1]
	v_subb_co_u32_e32 v8, vcc, v6, v8, vcc
	v_cmp_ne_u32_e64 s[0:1], 0, v10
	v_cmp_le_u32_e32 vcc, s19, v8
	v_cndmask_b32_e64 v10, v14, v12, s[0:1]
	v_cndmask_b32_e64 v12, 0, -1, vcc
	v_cmp_le_u32_e32 vcc, s18, v7
	v_cndmask_b32_e64 v7, 0, -1, vcc
	v_cmp_eq_u32_e32 vcc, s19, v8
	v_cndmask_b32_e32 v7, v12, v7, vcc
	v_cmp_ne_u32_e32 vcc, 0, v7
	v_cndmask_b32_e64 v7, v13, v11, s[0:1]
	v_cndmask_b32_e32 v8, v9, v10, vcc
	v_cndmask_b32_e32 v7, v4, v7, vcc
.LBB0_4:                                ;   in Loop: Header=BB0_2 Depth=1
	s_andn2_saveexec_b64 s[0:1], s[20:21]
	s_cbranch_execz .LBB0_6
; %bb.5:                                ;   in Loop: Header=BB0_2 Depth=1
	v_cvt_f32_u32_e32 v4, s18
	s_sub_i32 s20, 0, s18
	v_rcp_iflag_f32_e32 v4, v4
	v_mul_f32_e32 v4, 0x4f7ffffe, v4
	v_cvt_u32_f32_e32 v4, v4
	v_mul_lo_u32 v7, s20, v4
	v_mul_hi_u32 v7, v4, v7
	v_add_u32_e32 v4, v4, v7
	v_mul_hi_u32 v4, v5, v4
	v_mul_lo_u32 v7, v4, s18
	v_add_u32_e32 v8, 1, v4
	v_sub_u32_e32 v7, v5, v7
	v_subrev_u32_e32 v9, s18, v7
	v_cmp_le_u32_e32 vcc, s18, v7
	v_cndmask_b32_e32 v7, v7, v9, vcc
	v_cndmask_b32_e32 v4, v4, v8, vcc
	v_add_u32_e32 v8, 1, v4
	v_cmp_le_u32_e32 vcc, s18, v7
	v_cndmask_b32_e32 v7, v4, v8, vcc
	v_mov_b32_e32 v8, v3
.LBB0_6:                                ;   in Loop: Header=BB0_2 Depth=1
	s_or_b64 exec, exec, s[0:1]
	v_mul_lo_u32 v4, v8, s18
	v_mul_lo_u32 v11, v7, s19
	v_mad_u64_u32 v[9:10], s[0:1], v7, s18, 0
	s_load_dwordx2 s[0:1], s[6:7], 0x0
	s_add_u32 s16, s16, 1
	v_add3_u32 v4, v10, v11, v4
	v_sub_co_u32_e32 v5, vcc, v5, v9
	v_subb_co_u32_e32 v4, vcc, v6, v4, vcc
	s_waitcnt lgkmcnt(0)
	v_mul_lo_u32 v4, s0, v4
	v_mul_lo_u32 v6, s1, v5
	v_mad_u64_u32 v[1:2], s[0:1], s0, v5, v[1:2]
	s_addc_u32 s17, s17, 0
	s_add_u32 s6, s6, 8
	v_add3_u32 v2, v6, v2, v4
	v_mov_b32_e32 v4, s10
	v_mov_b32_e32 v5, s11
	s_addc_u32 s7, s7, 0
	v_cmp_ge_u64_e32 vcc, s[16:17], v[4:5]
	s_add_u32 s14, s14, 8
	s_addc_u32 s15, s15, 0
	s_cbranch_vccnz .LBB0_9
; %bb.7:                                ;   in Loop: Header=BB0_2 Depth=1
	v_mov_b32_e32 v5, v7
	v_mov_b32_e32 v6, v8
	s_branch .LBB0_2
.LBB0_8:
	v_mov_b32_e32 v8, v6
	v_mov_b32_e32 v7, v5
.LBB0_9:
	s_lshl_b64 s[0:1], s[10:11], 3
	s_add_u32 s0, s12, s0
	s_addc_u32 s1, s13, s1
	s_load_dwordx2 s[6:7], s[0:1], 0x0
	s_load_dwordx2 s[10:11], s[4:5], 0x20
	v_mov_b32_e32 v14, 0
	v_mov_b32_e32 v9, 0
	;; [unrolled: 1-line block ×3, first 2 shown]
	s_waitcnt lgkmcnt(0)
	v_mad_u64_u32 v[1:2], s[0:1], s6, v7, v[1:2]
	v_mul_lo_u32 v3, s6, v8
	v_mul_lo_u32 v4, s7, v7
	s_mov_b32 s0, 0x539782a
	v_mul_hi_u32 v5, v0, s0
	v_cmp_gt_u64_e64 s[0:1], s[10:11], v[7:8]
	v_add3_u32 v2, v4, v2, v3
	v_lshlrev_b64 v[10:11], 2, v[1:2]
	v_mul_u32_u24_e32 v3, 49, v5
	v_sub_u32_e32 v8, v0, v3
	v_mov_b32_e32 v82, 0
	v_mov_b32_e32 v80, 0
	;; [unrolled: 1-line block ×25, first 2 shown]
                                        ; implicit-def: $vgpr1
                                        ; implicit-def: $vgpr4
                                        ; implicit-def: $vgpr5
                                        ; implicit-def: $vgpr13
                                        ; implicit-def: $vgpr52
                                        ; implicit-def: $vgpr70
                                        ; implicit-def: $vgpr73
                                        ; implicit-def: $vgpr78
                                        ; implicit-def: $vgpr81
                                        ; implicit-def: $vgpr87
                                        ; implicit-def: $vgpr88
                                        ; implicit-def: $vgpr91
                                        ; implicit-def: $vgpr15
                                        ; implicit-def: $vgpr16
                                        ; implicit-def: $vgpr18
                                        ; implicit-def: $vgpr19
                                        ; implicit-def: $vgpr93
                                        ; implicit-def: $vgpr94
                                        ; implicit-def: $vgpr89
                                        ; implicit-def: $vgpr90
                                        ; implicit-def: $vgpr83
                                        ; implicit-def: $vgpr85
                                        ; implicit-def: $vgpr76
                                        ; implicit-def: $vgpr79
                                        ; implicit-def: $vgpr71
                                        ; implicit-def: $vgpr72
                                        ; implicit-def: $vgpr36
                                        ; implicit-def: $vgpr51
	s_and_saveexec_b64 s[4:5], s[0:1]
	s_cbranch_execz .LBB0_11
; %bb.10:
	v_mov_b32_e32 v9, 0
	v_mov_b32_e32 v0, s3
	v_add_co_u32_e32 v2, vcc, s2, v10
	v_addc_co_u32_e32 v3, vcc, v0, v11, vcc
	v_lshlrev_b64 v[0:1], 2, v[8:9]
	s_mov_b32 s6, 0x5040100
	v_add_co_u32_e32 v18, vcc, v2, v0
	v_addc_co_u32_e32 v19, vcc, v3, v1, vcc
	v_add_co_u32_e32 v24, vcc, 0x1000, v18
	v_addc_co_u32_e32 v25, vcc, 0, v19, vcc
	;; [unrolled: 2-line block ×3, first 2 shown]
	global_load_dword v22, v[24:25], off offset:20
	global_load_dword v28, v[24:25], off offset:216
	;; [unrolled: 1-line block ×10, first 2 shown]
	global_load_dword v9, v[18:19], off
	global_load_dword v82, v[18:19], off offset:196
	global_load_dword v75, v[18:19], off offset:392
	;; [unrolled: 1-line block ×34, first 2 shown]
                                        ; kill: killed $vgpr18 killed $vgpr19
	global_load_dword v23, v[24:25], off offset:1392
	global_load_dword v44, v[24:25], off offset:1196
	;; [unrolled: 1-line block ×4, first 2 shown]
	s_mov_b32 s7, 0x7060302
	s_waitcnt vmcnt(43)
	v_lshrrev_b32_e32 v16, 16, v4
	s_waitcnt vmcnt(42)
	v_lshrrev_b32_e32 v91, 16, v34
	;; [unrolled: 2-line block ×5, first 2 shown]
	v_perm_b32 v18, v4, v22, s6
	v_perm_b32 v93, v34, v28, s6
	;; [unrolled: 1-line block ×3, first 2 shown]
	s_waitcnt vmcnt(23)
	v_perm_b32 v83, v36, v39, s6
	s_waitcnt vmcnt(22)
	v_perm_b32 v76, v38, v40, s6
	s_waitcnt vmcnt(20)
	v_lshrrev_b32_e32 v13, 16, v42
	s_waitcnt vmcnt(19)
	v_perm_b32 v90, v81, v33, s7
	s_waitcnt vmcnt(18)
	v_perm_b32 v85, v73, v39, s7
	;; [unrolled: 2-line block ×3, first 2 shown]
	v_perm_b32 v71, v42, v41, s6
	s_waitcnt vmcnt(15)
	v_perm_b32 v94, v88, v28, s7
	s_waitcnt vmcnt(14)
	;; [unrolled: 2-line block ×3, first 2 shown]
	v_lshrrev_b32_e32 v4, 16, v43
	v_perm_b32 v72, v5, v41, s7
	s_waitcnt vmcnt(2)
	v_perm_b32 v36, v43, v44, s6
	s_waitcnt vmcnt(1)
	v_perm_b32 v51, v1, v44, s7
.LBB0_11:
	s_or_b64 exec, exec, s[4:5]
	s_mov_b32 s11, 0x5040100
	v_perm_b32 v22, v17, v23, s11
	v_add_f16_e32 v24, v15, v14
	v_pk_add_f16 v25, v18, v22
	v_add_f16_sdwa v28, v24, v25 dst_sel:DWORD dst_unused:UNUSED_PAD src0_sel:DWORD src1_sel:WORD_1
	v_sub_f16_e32 v31, v24, v25
	v_alignbit_b32 v24, v24, v25, 16
	s_mov_b32 s12, 0x7060302
	v_pk_add_f16 v24, v25, v24 neg_lo:[0,1] neg_hi:[0,1]
	v_add_f16_e32 v28, v28, v25
	v_perm_b32 v25, v14, v23, s12
	v_sub_f16_sdwa v23, v17, v16 dst_sel:DWORD dst_unused:UNUSED_PAD src0_sel:WORD_1 src1_sel:DWORD
	v_pk_add_f16 v32, v25, v19 neg_lo:[0,1] neg_hi:[0,1]
	v_pack_b32_f16 v33, v23, v32
	v_pk_add_f16 v34, v32, v33 neg_lo:[0,1] neg_hi:[0,1]
	v_add_f16_e32 v33, v23, v32
	s_mov_b32 s7, 0x39e02b26
	v_sub_f16_sdwa v23, v23, v32 dst_sel:DWORD dst_unused:UNUSED_PAD src0_sel:DWORD src1_sel:WORD_1
	v_add_f16_sdwa v35, v32, v33 dst_sel:DWORD dst_unused:UNUSED_PAD src0_sel:WORD_1 src1_sel:DWORD
	v_pk_mul_f16 v38, v24, s7
	v_mul_f16_e32 v32, 0xba52, v31
	v_alignbit_b32 v32, v32, v38, 16
	s_mov_b32 s10, 0x3574b846
	v_mul_f16_e32 v23, 0x3b00, v23
	s_mov_b32 s5, 0xbcab
	v_add_f16_e32 v39, v28, v9
	v_pk_fma_f16 v24, v24, s7, v32 neg_lo:[1,0,0] neg_hi:[1,0,0]
	v_pk_fma_f16 v23, v34, s10, v23 op_sel_hi:[1,1,0] neg_lo:[1,0,0] neg_hi:[1,0,1]
	v_mul_f16_e32 v32, 0x370e, v35
	v_fma_f16 v28, v28, s5, v39
	v_pk_add_f16 v23, v23, v32 op_sel_hi:[1,0]
	v_pk_add_f16 v24, v24, v28 op_sel_hi:[1,0]
	v_pk_add_f16 v32, v24, v23
	v_pk_add_f16 v23, v24, v23 neg_lo:[0,1] neg_hi:[0,1]
	s_mov_b32 s13, 0xffff
	s_movk_i32 s6, 0x3a52
	v_pk_mul_f16 v24, v34, s10
	v_bfi_b32 v33, s13, v32, v23
	v_alignbit_b32 v32, v23, v32, 16
	v_fma_f16 v23, v31, s6, v38
	s_movk_i32 s4, 0x370e
	v_add_f16_sdwa v24, v24, v24 dst_sel:DWORD dst_unused:UNUSED_PAD src0_sel:WORD_1 src1_sel:DWORD
	v_add_f16_e32 v23, v23, v28
	v_fma_f16 v24, v35, s4, v24
	v_add_f16_e32 v28, v23, v24
	v_pack_b32_f16 v31, v39, v28
	v_mad_u32_u24 v95, v8, 14, 0
	v_perm_b32 v96, v92, v27, s11
	ds_write_b96 v95, v[31:33]
	v_add_f16_e32 v28, v88, v86
	v_pk_add_f16 v31, v93, v96
	v_add_f16_sdwa v32, v28, v31 dst_sel:DWORD dst_unused:UNUSED_PAD src0_sel:DWORD src1_sel:WORD_1
	v_sub_f16_e32 v34, v28, v31
	v_alignbit_b32 v28, v28, v31, 16
	v_perm_b32 v97, v86, v27, s12
	v_pk_add_f16 v28, v31, v28 neg_lo:[0,1] neg_hi:[0,1]
	v_add_f16_e32 v31, v32, v31
	v_sub_f16_sdwa v27, v92, v91 dst_sel:DWORD dst_unused:UNUSED_PAD src0_sel:WORD_1 src1_sel:DWORD
	v_pk_add_f16 v32, v97, v94 neg_lo:[0,1] neg_hi:[0,1]
	v_pack_b32_f16 v33, v27, v32
	v_pk_add_f16 v35, v32, v33 neg_lo:[0,1] neg_hi:[0,1]
	v_add_f16_e32 v33, v27, v32
	v_sub_f16_sdwa v27, v27, v32 dst_sel:DWORD dst_unused:UNUSED_PAD src0_sel:DWORD src1_sel:WORD_1
	v_add_f16_sdwa v38, v32, v33 dst_sel:DWORD dst_unused:UNUSED_PAD src0_sel:WORD_1 src1_sel:DWORD
	v_mul_f16_e32 v32, 0xba52, v34
	v_pk_mul_f16 v39, v28, s7
	v_alignbit_b32 v32, v32, v39, 16
	v_mul_f16_e32 v27, 0x3b00, v27
	v_add_f16_e32 v40, v31, v82
	v_pk_fma_f16 v28, v28, s7, v32 neg_lo:[1,0,0] neg_hi:[1,0,0]
	v_pk_fma_f16 v27, v35, s10, v27 op_sel_hi:[1,1,0] neg_lo:[1,0,0] neg_hi:[1,0,1]
	v_mul_f16_e32 v32, 0x370e, v38
	v_fma_f16 v31, v31, s5, v40
	v_pk_add_f16 v27, v27, v32 op_sel_hi:[1,0]
	v_pk_add_f16 v28, v28, v31 op_sel_hi:[1,0]
	v_pk_add_f16 v32, v28, v27
	v_pk_add_f16 v27, v28, v27 neg_lo:[0,1] neg_hi:[0,1]
	v_pk_mul_f16 v28, v35, s10
	v_bfi_b32 v33, s13, v32, v27
	v_alignbit_b32 v32, v27, v32, 16
	v_fma_f16 v27, v34, s6, v39
	v_add_f16_sdwa v28, v28, v28 dst_sel:DWORD dst_unused:UNUSED_PAD src0_sel:WORD_1 src1_sel:DWORD
	v_add_f16_e32 v27, v27, v31
	v_fma_f16 v28, v38, s4, v28
	v_add_f16_e32 v31, v27, v28
	v_pack_b32_f16 v31, v40, v31
	v_perm_b32 v98, v84, v30, s11
	ds_write_b96 v95, v[31:33] offset:686
	v_add_f16_e32 v31, v81, v80
	v_pk_add_f16 v32, v89, v98
	v_add_f16_sdwa v33, v31, v32 dst_sel:DWORD dst_unused:UNUSED_PAD src0_sel:DWORD src1_sel:WORD_1
	v_sub_f16_e32 v34, v31, v32
	v_alignbit_b32 v31, v31, v32, 16
	v_perm_b32 v99, v80, v30, s12
	v_pk_add_f16 v31, v32, v31 neg_lo:[0,1] neg_hi:[0,1]
	v_add_f16_e32 v32, v33, v32
	v_sub_f16_sdwa v30, v84, v87 dst_sel:DWORD dst_unused:UNUSED_PAD src0_sel:WORD_1 src1_sel:DWORD
	v_pk_add_f16 v33, v99, v90 neg_lo:[0,1] neg_hi:[0,1]
	v_pack_b32_f16 v35, v30, v33
	v_add_f16_e32 v38, v30, v33
	v_pk_add_f16 v35, v33, v35 neg_lo:[0,1] neg_hi:[0,1]
	v_sub_f16_sdwa v30, v30, v33 dst_sel:DWORD dst_unused:UNUSED_PAD src0_sel:DWORD src1_sel:WORD_1
	v_add_f16_sdwa v33, v33, v38 dst_sel:DWORD dst_unused:UNUSED_PAD src0_sel:WORD_1 src1_sel:DWORD
	v_mul_f16_e32 v38, 0xba52, v34
	v_pk_mul_f16 v39, v31, s7
	v_alignbit_b32 v38, v38, v39, 16
	v_mul_f16_e32 v30, 0x3b00, v30
	v_pk_fma_f16 v31, v31, s7, v38 neg_lo:[1,0,0] neg_hi:[1,0,0]
	v_pk_fma_f16 v30, v35, s10, v30 op_sel_hi:[1,1,0] neg_lo:[1,0,0] neg_hi:[1,0,1]
	v_mul_f16_e32 v38, 0x370e, v33
	v_pk_add_f16 v30, v30, v38 op_sel_hi:[1,0]
	v_add_f16_e32 v38, v32, v75
	v_fma_f16 v40, v32, s5, v38
	v_pk_add_f16 v31, v31, v40 op_sel_hi:[1,0]
	v_pk_add_f16 v41, v31, v30
	v_pk_add_f16 v30, v31, v30 neg_lo:[0,1] neg_hi:[0,1]
	v_bfi_b32 v32, s13, v41, v30
	v_alignbit_b32 v31, v30, v41, 16
	v_fma_f16 v30, v34, s6, v39
	v_add_f16_e32 v34, v30, v40
	v_pk_mul_f16 v30, v35, s10
	v_add_f16_sdwa v30, v30, v30 dst_sel:DWORD dst_unused:UNUSED_PAD src0_sel:WORD_1 src1_sel:DWORD
	v_fma_f16 v33, v33, s4, v30
	v_add_f16_e32 v30, v34, v33
	v_pack_b32_f16 v30, v38, v30
	v_perm_b32 v100, v77, v29, s11
	ds_write_b96 v95, v[30:32] offset:1372
	v_add_f16_e32 v30, v73, v74
	v_pk_add_f16 v31, v83, v100
	v_add_f16_sdwa v32, v30, v31 dst_sel:DWORD dst_unused:UNUSED_PAD src0_sel:DWORD src1_sel:WORD_1
	v_sub_f16_e32 v35, v30, v31
	v_alignbit_b32 v30, v30, v31, 16
	v_perm_b32 v101, v74, v29, s12
	v_pk_add_f16 v30, v31, v30 neg_lo:[0,1] neg_hi:[0,1]
	v_add_f16_e32 v31, v32, v31
	v_sub_f16_sdwa v29, v77, v78 dst_sel:DWORD dst_unused:UNUSED_PAD src0_sel:WORD_1 src1_sel:DWORD
	v_pk_add_f16 v32, v101, v85 neg_lo:[0,1] neg_hi:[0,1]
	v_pack_b32_f16 v38, v29, v32
	v_add_f16_e32 v39, v29, v32
	v_pk_add_f16 v38, v32, v38 neg_lo:[0,1] neg_hi:[0,1]
	v_sub_f16_sdwa v29, v29, v32 dst_sel:DWORD dst_unused:UNUSED_PAD src0_sel:DWORD src1_sel:WORD_1
	v_add_f16_sdwa v32, v32, v39 dst_sel:DWORD dst_unused:UNUSED_PAD src0_sel:WORD_1 src1_sel:DWORD
	v_mul_f16_e32 v39, 0xba52, v35
	v_pk_mul_f16 v40, v30, s7
	v_alignbit_b32 v39, v39, v40, 16
	v_mul_f16_e32 v29, 0x3b00, v29
	v_pk_fma_f16 v30, v30, s7, v39 neg_lo:[1,0,0] neg_hi:[1,0,0]
	v_pk_fma_f16 v29, v38, s10, v29 op_sel_hi:[1,1,0] neg_lo:[1,0,0] neg_hi:[1,0,1]
	v_mul_f16_e32 v39, 0x370e, v32
	v_pk_add_f16 v29, v29, v39 op_sel_hi:[1,0]
	v_add_f16_e32 v39, v31, v68
	v_fma_f16 v41, v31, s5, v39
	v_pk_add_f16 v30, v30, v41 op_sel_hi:[1,0]
	v_pk_add_f16 v42, v30, v29
	v_pk_add_f16 v29, v30, v29 neg_lo:[0,1] neg_hi:[0,1]
	v_bfi_b32 v31, s13, v42, v29
	v_alignbit_b32 v30, v29, v42, 16
	v_fma_f16 v29, v35, s6, v40
	v_add_f16_e32 v35, v29, v41
	v_pk_mul_f16 v29, v38, s10
	v_add_f16_sdwa v29, v29, v29 dst_sel:DWORD dst_unused:UNUSED_PAD src0_sel:WORD_1 src1_sel:DWORD
	v_fma_f16 v32, v32, s4, v29
	v_add_f16_e32 v29, v35, v32
	v_pack_b32_f16 v29, v39, v29
	v_perm_b32 v102, v69, v26, s11
	ds_write_b96 v95, v[29:31] offset:2058
	v_add_f16_e32 v29, v52, v67
	v_pk_add_f16 v30, v76, v102
	v_add_f16_sdwa v31, v29, v30 dst_sel:DWORD dst_unused:UNUSED_PAD src0_sel:DWORD src1_sel:WORD_1
	v_sub_f16_e32 v38, v29, v30
	v_alignbit_b32 v29, v29, v30, 16
	v_perm_b32 v103, v67, v26, s12
	v_pk_add_f16 v29, v30, v29 neg_lo:[0,1] neg_hi:[0,1]
	v_add_f16_e32 v30, v31, v30
	v_sub_f16_sdwa v26, v69, v70 dst_sel:DWORD dst_unused:UNUSED_PAD src0_sel:WORD_1 src1_sel:DWORD
	v_pk_add_f16 v31, v103, v79 neg_lo:[0,1] neg_hi:[0,1]
	v_pack_b32_f16 v39, v26, v31
	v_add_f16_e32 v40, v26, v31
	v_pk_add_f16 v39, v31, v39 neg_lo:[0,1] neg_hi:[0,1]
	v_sub_f16_sdwa v26, v26, v31 dst_sel:DWORD dst_unused:UNUSED_PAD src0_sel:DWORD src1_sel:WORD_1
	v_add_f16_sdwa v40, v31, v40 dst_sel:DWORD dst_unused:UNUSED_PAD src0_sel:WORD_1 src1_sel:DWORD
	v_mul_f16_e32 v31, 0xba52, v38
	v_pk_mul_f16 v41, v29, s7
	v_alignbit_b32 v31, v31, v41, 16
	v_mul_f16_e32 v26, 0x3b00, v26
	v_add_f16_e32 v42, v30, v12
	v_pk_fma_f16 v29, v29, s7, v31 neg_lo:[1,0,0] neg_hi:[1,0,0]
	v_pk_fma_f16 v26, v39, s10, v26 op_sel_hi:[1,1,0] neg_lo:[1,0,0] neg_hi:[1,0,1]
	v_mul_f16_e32 v31, 0x370e, v40
	v_fma_f16 v43, v30, s5, v42
	v_pk_add_f16 v26, v26, v31 op_sel_hi:[1,0]
	v_pk_add_f16 v29, v29, v43 op_sel_hi:[1,0]
	v_pk_add_f16 v30, v29, v26
	v_pk_add_f16 v26, v29, v26 neg_lo:[0,1] neg_hi:[0,1]
	v_pk_mul_f16 v29, v39, s10
	v_bfi_b32 v31, s13, v30, v26
	v_alignbit_b32 v30, v26, v30, 16
	v_fma_f16 v26, v38, s6, v41
	v_add_f16_sdwa v29, v29, v29 dst_sel:DWORD dst_unused:UNUSED_PAD src0_sel:WORD_1 src1_sel:DWORD
	v_add_f16_e32 v26, v26, v43
	v_fma_f16 v38, v40, s4, v29
	v_add_f16_e32 v29, v26, v38
	v_pack_b32_f16 v29, v42, v29
	v_perm_b32 v104, v37, v21, s11
	ds_write_b96 v95, v[29:31] offset:2744
	v_add_f16_e32 v29, v5, v6
	v_pk_add_f16 v30, v71, v104
	v_add_f16_sdwa v31, v29, v30 dst_sel:DWORD dst_unused:UNUSED_PAD src0_sel:DWORD src1_sel:WORD_1
	v_sub_f16_e32 v39, v29, v30
	v_alignbit_b32 v29, v29, v30, 16
	v_perm_b32 v105, v6, v21, s12
	v_pk_add_f16 v29, v30, v29 neg_lo:[0,1] neg_hi:[0,1]
	v_add_f16_e32 v30, v31, v30
	v_sub_f16_sdwa v21, v37, v13 dst_sel:DWORD dst_unused:UNUSED_PAD src0_sel:WORD_1 src1_sel:DWORD
	v_pk_add_f16 v31, v105, v72 neg_lo:[0,1] neg_hi:[0,1]
	v_pack_b32_f16 v40, v21, v31
	v_add_f16_e32 v41, v21, v31
	v_pk_add_f16 v40, v31, v40 neg_lo:[0,1] neg_hi:[0,1]
	v_sub_f16_sdwa v21, v21, v31 dst_sel:DWORD dst_unused:UNUSED_PAD src0_sel:DWORD src1_sel:WORD_1
	v_add_f16_sdwa v31, v31, v41 dst_sel:DWORD dst_unused:UNUSED_PAD src0_sel:WORD_1 src1_sel:DWORD
	v_mul_f16_e32 v41, 0xba52, v39
	v_pk_mul_f16 v42, v29, s7
	v_alignbit_b32 v41, v41, v42, 16
	v_pk_fma_f16 v29, v29, s7, v41 neg_lo:[1,0,0] neg_hi:[1,0,0]
	v_add_f16_e32 v41, v30, v2
	v_fma_f16 v39, v39, s6, v42
	v_fma_f16 v30, v30, s5, v41
	v_add_f16_e32 v39, v39, v30
	v_pk_add_f16 v29, v29, v30 op_sel_hi:[1,0]
	v_pk_mul_f16 v30, v40, s10
	v_mul_f16_e32 v21, 0x3b00, v21
	v_add_f16_sdwa v30, v30, v30 dst_sel:DWORD dst_unused:UNUSED_PAD src0_sel:WORD_1 src1_sel:DWORD
	v_pk_fma_f16 v21, v40, s10, v21 op_sel_hi:[1,1,0] neg_lo:[1,0,0] neg_hi:[1,0,1]
	v_fma_f16 v30, v31, s4, v30
	v_mul_f16_e32 v31, 0x370e, v31
	v_pk_add_f16 v21, v21, v31 op_sel_hi:[1,0]
	v_pk_add_f16 v40, v29, v21
	v_pk_add_f16 v21, v29, v21 neg_lo:[0,1] neg_hi:[0,1]
	v_add_f16_e32 v29, v39, v30
	v_sub_f16_e32 v30, v39, v30
	v_bfi_b32 v29, s13, v29, v40
	v_alignbit_b32 v31, v30, v21, 16
	v_pack_b32_f16 v30, v21, v40
	s_waitcnt vmcnt(0)
	v_perm_b32 v109, v7, v20, s11
	ds_write_b96 v95, v[29:31] offset:3432
	v_add_f16_e32 v21, v1, v3
	v_pk_add_f16 v29, v36, v109
	v_add_f16_sdwa v30, v21, v29 dst_sel:DWORD dst_unused:UNUSED_PAD src0_sel:DWORD src1_sel:WORD_1
	v_sub_f16_e32 v31, v21, v29
	v_alignbit_b32 v21, v21, v29, 16
	v_perm_b32 v110, v3, v20, s12
	v_pk_add_f16 v21, v29, v21 neg_lo:[0,1] neg_hi:[0,1]
	v_add_f16_e32 v29, v30, v29
	v_sub_f16_sdwa v20, v7, v4 dst_sel:DWORD dst_unused:UNUSED_PAD src0_sel:WORD_1 src1_sel:DWORD
	v_pk_add_f16 v30, v110, v51 neg_lo:[0,1] neg_hi:[0,1]
	v_pack_b32_f16 v39, v20, v30
	v_add_f16_e32 v40, v20, v30
	v_pk_add_f16 v39, v30, v39 neg_lo:[0,1] neg_hi:[0,1]
	v_sub_f16_sdwa v20, v20, v30 dst_sel:DWORD dst_unused:UNUSED_PAD src0_sel:DWORD src1_sel:WORD_1
	v_add_f16_sdwa v30, v30, v40 dst_sel:DWORD dst_unused:UNUSED_PAD src0_sel:WORD_1 src1_sel:DWORD
	v_mul_f16_e32 v40, 0xba52, v31
	v_pk_mul_f16 v42, v21, s7
	v_alignbit_b32 v40, v40, v42, 16
	v_pk_fma_f16 v21, v21, s7, v40 neg_lo:[1,0,0] neg_hi:[1,0,0]
	v_add_f16_e32 v40, v29, v0
	v_fma_f16 v31, v31, s6, v42
	v_fma_f16 v29, v29, s5, v40
	v_add_f16_e32 v31, v31, v29
	v_pk_add_f16 v21, v21, v29 op_sel_hi:[1,0]
	v_pk_mul_f16 v29, v39, s10
	v_mul_f16_e32 v20, 0x3b00, v20
	v_add_f16_sdwa v29, v29, v29 dst_sel:DWORD dst_unused:UNUSED_PAD src0_sel:WORD_1 src1_sel:DWORD
	v_pk_fma_f16 v20, v39, s10, v20 op_sel_hi:[1,1,0] neg_lo:[1,0,0] neg_hi:[1,0,1]
	v_fma_f16 v29, v30, s4, v29
	v_mul_f16_e32 v30, 0x370e, v30
	v_pk_add_f16 v20, v20, v30 op_sel_hi:[1,0]
	v_pk_add_f16 v30, v21, v20
	v_pk_add_f16 v20, v21, v20 neg_lo:[0,1] neg_hi:[0,1]
	v_add_f16_e32 v21, v31, v29
	v_sub_f16_e32 v31, v31, v29
	v_sub_f16_e32 v14, v14, v15
	v_add_f16_sdwa v15, v16, v17 dst_sel:DWORD dst_unused:UNUSED_PAD src0_sel:DWORD src1_sel:WORD_1
	v_pk_add_f16 v17, v22, v18 neg_lo:[0,1] neg_hi:[0,1]
	v_bfi_b32 v29, s13, v21, v30
	v_alignbit_b32 v31, v31, v20, 16
	v_pack_b32_f16 v30, v20, v30
	v_pk_add_f16 v16, v19, v25
	v_add_f16_sdwa v20, v17, v17 dst_sel:DWORD dst_unused:UNUSED_PAD src0_sel:WORD_1 src1_sel:DWORD
	v_add_f16_sdwa v18, v16, v15 dst_sel:DWORD dst_unused:UNUSED_PAD src0_sel:WORD_1 src1_sel:DWORD
	v_add_f16_e32 v20, v14, v20
	v_sub_f16_e32 v21, v14, v17
	v_sub_f16_sdwa v14, v17, v14 dst_sel:DWORD dst_unused:UNUSED_PAD src0_sel:WORD_1 src1_sel:DWORD
	v_sub_f16_sdwa v17, v17, v17 dst_sel:DWORD dst_unused:UNUSED_PAD src0_sel:DWORD src1_sel:WORD_1
	v_sub_f16_sdwa v19, v15, v16 dst_sel:DWORD dst_unused:UNUSED_PAD src0_sel:DWORD src1_sel:WORD_1
	v_sub_f16_e32 v15, v16, v15
	v_add_f16_e32 v18, v18, v16
	v_sub_f16_sdwa v16, v16, v16 dst_sel:DWORD dst_unused:UNUSED_PAD src0_sel:WORD_1 src1_sel:DWORD
	v_mul_f16_e32 v17, 0xb846, v17
	s_movk_i32 s7, 0x3b00
	v_add_f16_sdwa v9, v18, v9 dst_sel:DWORD dst_unused:UNUSED_PAD src0_sel:DWORD src1_sel:WORD_1
	v_mul_f16_e32 v15, 0x2b26, v15
	s_movk_i32 s10, 0x39e0
	s_mov_b32 s11, 0xb9e0
	v_mul_f16_e32 v22, 0x3a52, v16
	v_fma_f16 v25, v14, s7, -v17
	v_mul_f16_e32 v14, 0x3b00, v14
	s_mov_b32 s12, 0xb574
	v_fma_f16 v18, v18, s5, v9
	v_fma_f16 v22, v19, s11, -v22
	v_fma_f16 v19, v19, s10, -v15
	;; [unrolled: 1-line block ×3, first 2 shown]
	v_add_f16_e32 v19, v19, v18
	v_fma_f16 v25, v20, s4, v25
	v_add_f16_e32 v22, v22, v18
	v_fma_f16 v14, v20, s4, v14
	ds_write_b96 v95, v[29:31] offset:4118
	v_add_f16_e32 v29, v25, v19
	v_sub_f16_e32 v19, v19, v25
	v_sub_f16_e32 v25, v22, v14
	v_add_f16_e32 v14, v14, v22
	s_movk_i32 s13, 0x3574
	v_pack_b32_f16 v108, v19, v14
	v_fma_f16 v14, v16, s6, v15
	v_fma_f16 v15, v21, s13, v17
	v_add_f16_e32 v111, v14, v18
	v_fma_f16 v112, v20, s4, v15
	v_sub_f16_e32 v14, v111, v112
	v_pack_b32_f16 v106, v9, v14
	v_sub_f16_e32 v9, v23, v24
	ds_write_b16 v95, v9 offset:12
	v_sub_f16_e32 v9, v27, v28
	ds_write_b16 v95, v9 offset:698
	;; [unrolled: 2-line block ×3, first 2 shown]
	v_sub_f16_e32 v9, v35, v32
	v_sub_f16_e32 v86, v86, v88
	v_add_f16_sdwa v88, v91, v92 dst_sel:DWORD dst_unused:UNUSED_PAD src0_sel:DWORD src1_sel:WORD_1
	v_pk_add_f16 v91, v94, v97
	v_pk_add_f16 v92, v96, v93 neg_lo:[0,1] neg_hi:[0,1]
	ds_write_b16 v95, v9 offset:2070
	v_sub_f16_e32 v9, v26, v38
	v_add_f16_sdwa v93, v91, v88 dst_sel:DWORD dst_unused:UNUSED_PAD src0_sel:WORD_1 src1_sel:DWORD
	v_add_f16_sdwa v96, v92, v92 dst_sel:DWORD dst_unused:UNUSED_PAD src0_sel:WORD_1 src1_sel:DWORD
	v_pack_b32_f16 v107, v25, v29
	ds_write_b16 v95, v9 offset:2756
	ds_write_b16 v95, v41 offset:3430
	;; [unrolled: 1-line block ×3, first 2 shown]
	v_lshl_add_u32 v9, v8, 1, 0
	v_sub_f16_sdwa v94, v88, v91 dst_sel:DWORD dst_unused:UNUSED_PAD src0_sel:DWORD src1_sel:WORD_1
	v_sub_f16_e32 v88, v91, v88
	v_add_f16_e32 v93, v93, v91
	v_sub_f16_sdwa v91, v91, v91 dst_sel:DWORD dst_unused:UNUSED_PAD src0_sel:WORD_1 src1_sel:DWORD
	v_add_f16_e32 v96, v86, v96
	v_sub_f16_e32 v97, v86, v92
	v_sub_f16_sdwa v86, v92, v86 dst_sel:DWORD dst_unused:UNUSED_PAD src0_sel:WORD_1 src1_sel:DWORD
	v_sub_f16_sdwa v92, v92, v92 dst_sel:DWORD dst_unused:UNUSED_PAD src0_sel:DWORD src1_sel:WORD_1
	s_waitcnt lgkmcnt(0)
	; wave barrier
	s_waitcnt lgkmcnt(0)
	ds_read_u16 v58, v9 offset:2254
	ds_read_u16 v57, v9 offset:2940
	;; [unrolled: 1-line block ×6, first 2 shown]
	ds_read_u16 v25, v9
	ds_read_u16 v24, v9 offset:98
	ds_read_u16 v23, v9 offset:196
	;; [unrolled: 1-line block ×42, first 2 shown]
	s_waitcnt lgkmcnt(0)
	; wave barrier
	s_waitcnt lgkmcnt(0)
	ds_write_b96 v95, v[106:108]
	v_add_f16_sdwa v82, v93, v82 dst_sel:DWORD dst_unused:UNUSED_PAD src0_sel:DWORD src1_sel:WORD_1
	v_mul_f16_e32 v88, 0x2b26, v88
	v_mul_f16_e32 v106, 0xb846, v92
	;; [unrolled: 1-line block ×3, first 2 shown]
	v_fma_f16 v107, v93, s5, v82
	v_fma_f16 v92, v94, s11, -v92
	v_fma_f16 v93, v94, s10, -v88
	;; [unrolled: 1-line block ×3, first 2 shown]
	v_mul_f16_e32 v86, 0x3b00, v86
	v_fma_f16 v86, v97, s12, -v86
	v_add_f16_e32 v93, v93, v107
	v_fma_f16 v94, v96, s4, v94
	v_add_f16_e32 v92, v92, v107
	v_fma_f16 v86, v96, s4, v86
	v_add_f16_e32 v108, v94, v93
	v_sub_f16_e32 v93, v93, v94
	v_sub_f16_e32 v94, v92, v86
	v_add_f16_e32 v86, v86, v92
	v_pack_b32_f16 v93, v93, v86
	v_fma_f16 v86, v91, s6, v88
	v_fma_f16 v88, v97, s13, v106
	v_add_f16_e32 v86, v86, v107
	v_fma_f16 v88, v96, s4, v88
	v_sub_f16_e32 v91, v86, v88
	v_pack_b32_f16 v91, v82, v91
	v_sub_f16_e32 v80, v80, v81
	v_add_f16_sdwa v81, v87, v84 dst_sel:DWORD dst_unused:UNUSED_PAD src0_sel:DWORD src1_sel:WORD_1
	v_pk_add_f16 v82, v90, v99
	v_pk_add_f16 v84, v98, v89 neg_lo:[0,1] neg_hi:[0,1]
	v_add_f16_sdwa v87, v82, v81 dst_sel:DWORD dst_unused:UNUSED_PAD src0_sel:WORD_1 src1_sel:DWORD
	v_pack_b32_f16 v92, v94, v108
	v_sub_f16_sdwa v89, v81, v82 dst_sel:DWORD dst_unused:UNUSED_PAD src0_sel:DWORD src1_sel:WORD_1
	v_sub_f16_e32 v81, v82, v81
	v_add_f16_e32 v87, v87, v82
	v_sub_f16_sdwa v90, v82, v82 dst_sel:DWORD dst_unused:UNUSED_PAD src0_sel:WORD_1 src1_sel:DWORD
	v_add_f16_sdwa v82, v84, v84 dst_sel:DWORD dst_unused:UNUSED_PAD src0_sel:WORD_1 src1_sel:DWORD
	ds_write_b96 v95, v[91:93] offset:686
	v_add_f16_e32 v91, v80, v82
	v_sub_f16_sdwa v82, v84, v84 dst_sel:DWORD dst_unused:UNUSED_PAD src0_sel:DWORD src1_sel:WORD_1
	v_sub_f16_e32 v92, v80, v84
	v_sub_f16_sdwa v80, v84, v80 dst_sel:DWORD dst_unused:UNUSED_PAD src0_sel:WORD_1 src1_sel:DWORD
	v_mul_f16_e32 v84, 0x2b26, v81
	v_mul_f16_e32 v93, 0xb846, v82
	;; [unrolled: 1-line block ×3, first 2 shown]
	v_add_f16_sdwa v75, v87, v75 dst_sel:DWORD dst_unused:UNUSED_PAD src0_sel:DWORD src1_sel:WORD_1
	v_fma_f16 v81, v89, s11, -v81
	v_fma_f16 v82, v89, s10, -v84
	v_fma_f16 v89, v80, s7, -v93
	v_mul_f16_e32 v80, 0x3b00, v80
	v_fma_f16 v87, v87, s5, v75
	v_fma_f16 v80, v92, s12, -v80
	v_add_f16_e32 v82, v82, v87
	v_fma_f16 v89, v91, s4, v89
	v_add_f16_e32 v81, v81, v87
	v_fma_f16 v80, v91, s4, v80
	v_add_f16_e32 v94, v89, v82
	v_sub_f16_e32 v82, v82, v89
	v_sub_f16_e32 v89, v81, v80
	v_add_f16_e32 v80, v80, v81
	v_pack_b32_f16 v82, v82, v80
	v_fma_f16 v80, v90, s6, v84
	v_fma_f16 v84, v92, s13, v93
	v_add_f16_e32 v87, v80, v87
	v_fma_f16 v84, v91, s4, v84
	v_sub_f16_e32 v80, v87, v84
	v_pack_b32_f16 v80, v75, v80
	v_sub_f16_e32 v73, v74, v73
	v_add_f16_sdwa v74, v78, v77 dst_sel:DWORD dst_unused:UNUSED_PAD src0_sel:DWORD src1_sel:WORD_1
	v_pk_add_f16 v75, v85, v101
	v_pack_b32_f16 v81, v89, v94
	v_pk_add_f16 v77, v100, v83 neg_lo:[0,1] neg_hi:[0,1]
	v_add_f16_sdwa v78, v75, v74 dst_sel:DWORD dst_unused:UNUSED_PAD src0_sel:WORD_1 src1_sel:DWORD
	ds_write_b96 v95, v[80:82] offset:1372
	v_sub_f16_sdwa v80, v74, v75 dst_sel:DWORD dst_unused:UNUSED_PAD src0_sel:DWORD src1_sel:WORD_1
	v_sub_f16_e32 v74, v75, v74
	v_add_f16_e32 v78, v78, v75
	v_sub_f16_sdwa v81, v75, v75 dst_sel:DWORD dst_unused:UNUSED_PAD src0_sel:WORD_1 src1_sel:DWORD
	v_add_f16_sdwa v75, v77, v77 dst_sel:DWORD dst_unused:UNUSED_PAD src0_sel:WORD_1 src1_sel:DWORD
	v_add_f16_e32 v82, v73, v75
	v_sub_f16_sdwa v75, v77, v77 dst_sel:DWORD dst_unused:UNUSED_PAD src0_sel:DWORD src1_sel:WORD_1
	v_sub_f16_e32 v83, v73, v77
	v_sub_f16_sdwa v73, v77, v73 dst_sel:DWORD dst_unused:UNUSED_PAD src0_sel:WORD_1 src1_sel:DWORD
	v_mul_f16_e32 v77, 0x2b26, v74
	v_mul_f16_e32 v85, 0xb846, v75
	;; [unrolled: 1-line block ×3, first 2 shown]
	v_add_f16_sdwa v68, v78, v68 dst_sel:DWORD dst_unused:UNUSED_PAD src0_sel:DWORD src1_sel:WORD_1
	v_fma_f16 v74, v80, s11, -v74
	v_fma_f16 v75, v80, s10, -v77
	;; [unrolled: 1-line block ×3, first 2 shown]
	v_mul_f16_e32 v73, 0x3b00, v73
	v_fma_f16 v78, v78, s5, v68
	v_fma_f16 v73, v83, s12, -v73
	v_add_f16_e32 v75, v75, v78
	v_fma_f16 v80, v82, s4, v80
	v_add_f16_e32 v74, v74, v78
	v_fma_f16 v73, v82, s4, v73
	v_add_f16_e32 v89, v80, v75
	v_sub_f16_e32 v75, v75, v80
	v_sub_f16_e32 v80, v74, v73
	v_add_f16_e32 v73, v73, v74
	v_pack_b32_f16 v75, v75, v73
	v_fma_f16 v73, v81, s6, v77
	v_fma_f16 v77, v83, s13, v85
	v_add_f16_e32 v78, v73, v78
	v_fma_f16 v77, v82, s4, v77
	v_sub_f16_e32 v73, v78, v77
	v_pack_b32_f16 v73, v68, v73
	v_sub_f16_e32 v52, v67, v52
	v_add_f16_sdwa v67, v70, v69 dst_sel:DWORD dst_unused:UNUSED_PAD src0_sel:DWORD src1_sel:WORD_1
	v_pk_add_f16 v68, v79, v103
	v_pack_b32_f16 v74, v80, v89
	v_pk_add_f16 v69, v102, v76 neg_lo:[0,1] neg_hi:[0,1]
	v_add_f16_sdwa v70, v68, v67 dst_sel:DWORD dst_unused:UNUSED_PAD src0_sel:WORD_1 src1_sel:DWORD
	ds_write_b96 v95, v[73:75] offset:2058
	v_sub_f16_sdwa v73, v67, v68 dst_sel:DWORD dst_unused:UNUSED_PAD src0_sel:DWORD src1_sel:WORD_1
	v_sub_f16_e32 v67, v68, v67
	v_add_f16_e32 v70, v70, v68
	v_sub_f16_sdwa v74, v68, v68 dst_sel:DWORD dst_unused:UNUSED_PAD src0_sel:WORD_1 src1_sel:DWORD
	v_add_f16_sdwa v68, v69, v69 dst_sel:DWORD dst_unused:UNUSED_PAD src0_sel:WORD_1 src1_sel:DWORD
	v_add_f16_e32 v75, v52, v68
	v_sub_f16_sdwa v68, v69, v69 dst_sel:DWORD dst_unused:UNUSED_PAD src0_sel:DWORD src1_sel:WORD_1
	v_sub_f16_e32 v76, v52, v69
	v_sub_f16_sdwa v52, v69, v52 dst_sel:DWORD dst_unused:UNUSED_PAD src0_sel:WORD_1 src1_sel:DWORD
	v_mul_f16_e32 v67, 0x2b26, v67
	v_mul_f16_e32 v79, 0xb846, v68
	;; [unrolled: 1-line block ×3, first 2 shown]
	v_add_f16_sdwa v12, v70, v12 dst_sel:DWORD dst_unused:UNUSED_PAD src0_sel:DWORD src1_sel:WORD_1
	v_fma_f16 v68, v73, s11, -v68
	v_fma_f16 v69, v73, s10, -v67
	;; [unrolled: 1-line block ×3, first 2 shown]
	v_mul_f16_e32 v52, 0x3b00, v52
	v_fma_f16 v70, v70, s5, v12
	v_fma_f16 v52, v76, s12, -v52
	v_add_f16_e32 v69, v69, v70
	v_fma_f16 v73, v75, s4, v73
	v_add_f16_e32 v68, v68, v70
	v_fma_f16 v52, v75, s4, v52
	v_add_f16_e32 v80, v73, v69
	v_sub_f16_e32 v69, v69, v73
	v_sub_f16_e32 v73, v68, v52
	v_add_f16_e32 v52, v52, v68
	v_pack_b32_f16 v69, v69, v52
	v_fma_f16 v52, v74, s6, v67
	v_fma_f16 v67, v76, s13, v79
	v_add_f16_e32 v52, v52, v70
	v_fma_f16 v70, v75, s4, v67
	v_sub_f16_e32 v67, v52, v70
	v_pack_b32_f16 v67, v12, v67
	v_sub_f16_e32 v5, v6, v5
	v_add_f16_sdwa v6, v13, v37 dst_sel:DWORD dst_unused:UNUSED_PAD src0_sel:DWORD src1_sel:WORD_1
	v_pk_add_f16 v12, v72, v105
	v_pack_b32_f16 v68, v73, v80
	v_add_f16_sdwa v37, v12, v6 dst_sel:DWORD dst_unused:UNUSED_PAD src0_sel:WORD_1 src1_sel:DWORD
	ds_write_b96 v95, v[67:69] offset:2744
	v_sub_f16_sdwa v67, v6, v12 dst_sel:DWORD dst_unused:UNUSED_PAD src0_sel:DWORD src1_sel:WORD_1
	v_sub_f16_e32 v6, v12, v6
	v_add_f16_e32 v37, v37, v12
	v_sub_f16_sdwa v12, v12, v12 dst_sel:DWORD dst_unused:UNUSED_PAD src0_sel:WORD_1 src1_sel:DWORD
	v_pk_add_f16 v13, v104, v71 neg_lo:[0,1] neg_hi:[0,1]
	v_mul_f16_e32 v6, 0x2b26, v6
	v_mul_f16_e32 v68, 0x3a52, v12
	v_fma_f16 v12, v12, s6, v6
	v_fma_f16 v6, v67, s10, -v6
	v_fma_f16 v67, v67, s11, -v68
	v_add_f16_sdwa v68, v13, v13 dst_sel:DWORD dst_unused:UNUSED_PAD src0_sel:WORD_1 src1_sel:DWORD
	v_add_f16_e32 v68, v5, v68
	v_sub_f16_e32 v69, v5, v13
	v_sub_f16_sdwa v5, v13, v5 dst_sel:DWORD dst_unused:UNUSED_PAD src0_sel:WORD_1 src1_sel:DWORD
	v_sub_f16_sdwa v13, v13, v13 dst_sel:DWORD dst_unused:UNUSED_PAD src0_sel:DWORD src1_sel:WORD_1
	v_mul_f16_e32 v13, 0xb846, v13
	v_add_f16_sdwa v2, v37, v2 dst_sel:DWORD dst_unused:UNUSED_PAD src0_sel:DWORD src1_sel:WORD_1
	v_mul_f16_e32 v71, 0x3b00, v5
	v_fma_f16 v5, v5, s7, -v13
	v_fma_f16 v37, v37, s5, v2
	v_fma_f16 v13, v69, s13, v13
	v_fma_f16 v69, v69, s12, -v71
	v_add_f16_e32 v6, v6, v37
	v_fma_f16 v5, v68, s4, v5
	v_add_f16_e32 v12, v12, v37
	v_add_f16_e32 v37, v67, v37
	v_fma_f16 v13, v68, s4, v13
	v_fma_f16 v67, v68, s4, v69
	v_add_f16_e32 v68, v5, v6
	v_sub_f16_e32 v5, v6, v5
	v_add_f16_e32 v6, v67, v37
	v_add_f16_e32 v69, v13, v12
	v_pack_b32_f16 v68, v68, v5
	v_sub_f16_e32 v5, v12, v13
	v_sub_f16_e32 v1, v3, v1
	v_add_f16_sdwa v3, v4, v7 dst_sel:DWORD dst_unused:UNUSED_PAD src0_sel:DWORD src1_sel:WORD_1
	v_pk_add_f16 v13, v51, v110
	v_pack_b32_f16 v69, v6, v69
	v_sub_f16_e32 v6, v37, v67
	v_add_f16_sdwa v37, v13, v3 dst_sel:DWORD dst_unused:UNUSED_PAD src0_sel:WORD_1 src1_sel:DWORD
	v_sub_f16_sdwa v51, v3, v13 dst_sel:DWORD dst_unused:UNUSED_PAD src0_sel:DWORD src1_sel:WORD_1
	v_sub_f16_e32 v3, v13, v3
	v_add_f16_e32 v37, v37, v13
	v_sub_f16_sdwa v13, v13, v13 dst_sel:DWORD dst_unused:UNUSED_PAD src0_sel:WORD_1 src1_sel:DWORD
	v_add_f16_e32 v12, v70, v52
	v_pk_add_f16 v36, v109, v36 neg_lo:[0,1] neg_hi:[0,1]
	v_mul_f16_e32 v3, 0x2b26, v3
	v_mul_f16_e32 v52, 0x3a52, v13
	v_pack_b32_f16 v67, v5, v6
	v_fma_f16 v13, v13, s6, v3
	v_fma_f16 v3, v51, s10, -v3
	v_fma_f16 v51, v51, s11, -v52
	v_add_f16_sdwa v52, v36, v36 dst_sel:DWORD dst_unused:UNUSED_PAD src0_sel:WORD_1 src1_sel:DWORD
	ds_write_b96 v95, v[67:69] offset:3432
	v_add_f16_e32 v52, v1, v52
	v_sub_f16_e32 v67, v1, v36
	v_sub_f16_sdwa v1, v36, v1 dst_sel:DWORD dst_unused:UNUSED_PAD src0_sel:WORD_1 src1_sel:DWORD
	v_sub_f16_sdwa v36, v36, v36 dst_sel:DWORD dst_unused:UNUSED_PAD src0_sel:DWORD src1_sel:WORD_1
	v_mul_f16_e32 v36, 0xb846, v36
	v_mul_f16_e32 v68, 0x3b00, v1
	v_add_f16_sdwa v0, v37, v0 dst_sel:DWORD dst_unused:UNUSED_PAD src0_sel:DWORD src1_sel:WORD_1
	v_fma_f16 v1, v1, s7, -v36
	v_fma_f16 v36, v67, s13, v36
	v_fma_f16 v67, v67, s12, -v68
	v_fma_f16 v37, v37, s5, v0
	v_add_f16_e32 v13, v13, v37
	v_add_f16_e32 v3, v3, v37
	v_add_f16_e32 v37, v51, v37
	v_fma_f16 v36, v52, s4, v36
	v_fma_f16 v1, v52, s4, v1
	;; [unrolled: 1-line block ×3, first 2 shown]
	v_add_f16_e32 v4, v112, v111
	v_add_f16_e32 v52, v1, v3
	v_sub_f16_e32 v1, v3, v1
	v_sub_f16_e32 v3, v37, v51
	v_add_f16_e32 v37, v51, v37
	v_sub_f16_e32 v51, v13, v36
	v_add_f16_e32 v13, v36, v13
	v_add_f16_e32 v5, v88, v86
	;; [unrolled: 1-line block ×4, first 2 shown]
	ds_write_b16 v95, v4 offset:12
	ds_write_b16 v95, v5 offset:698
	;; [unrolled: 1-line block ×7, first 2 shown]
	v_pack_b32_f16 v2, v37, v13
	v_pack_b32_f16 v1, v52, v1
	;; [unrolled: 1-line block ×3, first 2 shown]
	v_mov_b32_e32 v67, 37
	ds_write_b96 v95, v[0:2] offset:4118
	v_mul_lo_u16_sdwa v0, v8, v67 dst_sel:DWORD dst_unused:UNUSED_PAD src0_sel:BYTE_0 src1_sel:DWORD
	v_sub_u16_sdwa v1, v8, v0 dst_sel:DWORD dst_unused:UNUSED_PAD src0_sel:DWORD src1_sel:BYTE_1
	v_lshrrev_b16_e32 v1, 1, v1
	v_and_b32_e32 v1, 0x7f, v1
	v_add_u16_sdwa v0, v1, v0 dst_sel:DWORD dst_unused:UNUSED_PAD src0_sel:DWORD src1_sel:BYTE_1
	v_lshrrev_b16_e32 v36, 2, v0
	v_mul_lo_u16_e32 v0, 7, v36
	v_sub_u16_e32 v37, v8, v0
	v_mov_b32_e32 v68, 6
	v_mul_u32_u24_sdwa v0, v37, v68 dst_sel:DWORD dst_unused:UNUSED_PAD src0_sel:BYTE_0 src1_sel:DWORD
	v_lshlrev_b32_e32 v12, 2, v0
	s_waitcnt lgkmcnt(0)
	; wave barrier
	s_waitcnt lgkmcnt(0)
	global_load_dwordx4 v[0:3], v12, s[8:9]
	v_add_u16_e32 v4, 49, v8
	v_mul_lo_u16_sdwa v5, v4, v67 dst_sel:DWORD dst_unused:UNUSED_PAD src0_sel:BYTE_0 src1_sel:DWORD
	v_sub_u16_sdwa v6, v4, v5 dst_sel:DWORD dst_unused:UNUSED_PAD src0_sel:DWORD src1_sel:BYTE_1
	v_lshrrev_b16_e32 v6, 1, v6
	v_and_b32_e32 v6, 0x7f, v6
	v_add_u16_sdwa v5, v6, v5 dst_sel:DWORD dst_unused:UNUSED_PAD src0_sel:DWORD src1_sel:BYTE_1
	v_lshrrev_b16_e32 v51, 2, v5
	v_mul_lo_u16_e32 v5, 7, v51
	v_sub_u16_e32 v52, v4, v5
	v_mul_u32_u24_sdwa v4, v52, v68 dst_sel:DWORD dst_unused:UNUSED_PAD src0_sel:BYTE_0 src1_sel:DWORD
	v_lshlrev_b32_e32 v69, 2, v4
	global_load_dwordx4 v[4:7], v69, s[8:9]
	ds_read_u16 v70, v9 offset:686
	ds_read_u16 v77, v9 offset:1372
	;; [unrolled: 1-line block ×3, first 2 shown]
	global_load_dwordx2 v[12:13], v12, s[8:9] offset:16
	s_movk_i32 s14, 0x2493
	v_mul_u32_u24_e32 v36, 0x62, v36
	s_movk_i32 s15, 0x4f
	s_waitcnt vmcnt(2) lgkmcnt(2)
	v_mul_f16_sdwa v72, v70, v0 dst_sel:DWORD dst_unused:UNUSED_PAD src0_sel:DWORD src1_sel:WORD_1
	v_fma_f16 v126, v17, v0, -v72
	v_mul_f16_sdwa v76, v17, v0 dst_sel:DWORD dst_unused:UNUSED_PAD src0_sel:DWORD src1_sel:WORD_1
	v_add_u16_e32 v17, 0x62, v8
	v_mul_lo_u16_sdwa v72, v17, v67 dst_sel:DWORD dst_unused:UNUSED_PAD src0_sel:BYTE_0 src1_sel:DWORD
	v_sub_u16_sdwa v73, v17, v72 dst_sel:DWORD dst_unused:UNUSED_PAD src0_sel:DWORD src1_sel:BYTE_1
	v_lshrrev_b16_e32 v73, 1, v73
	v_and_b32_e32 v73, 0x7f, v73
	v_add_u16_sdwa v72, v73, v72 dst_sel:DWORD dst_unused:UNUSED_PAD src0_sel:DWORD src1_sel:BYTE_1
	v_lshrrev_b16_e32 v124, 2, v72
	v_mul_lo_u16_e32 v72, 7, v124
	v_sub_u16_e32 v125, v17, v72
	v_mul_u32_u24_sdwa v72, v125, v68 dst_sel:DWORD dst_unused:UNUSED_PAD src0_sel:BYTE_0 src1_sel:DWORD
	v_lshlrev_b32_e32 v80, 2, v72
	global_load_dwordx4 v[72:75], v80, s[8:9]
	v_fma_f16 v137, v70, v0, v76
	s_waitcnt lgkmcnt(1)
	v_mul_f16_sdwa v0, v77, v1 dst_sel:DWORD dst_unused:UNUSED_PAD src0_sel:DWORD src1_sel:WORD_1
	ds_read_u16 v70, v9 offset:1470
	ds_read_u16 v86, v9 offset:1274
	v_fma_f16 v144, v66, v1, -v0
	v_mul_f16_sdwa v0, v66, v1 dst_sel:DWORD dst_unused:UNUSED_PAD src0_sel:DWORD src1_sel:WORD_1
	ds_read_u16 v66, v9 offset:2058
	v_fma_f16 v145, v77, v1, v0
	ds_read_u16 v81, v9 offset:2156
	ds_read_u16 v82, v9 offset:2254
	;; [unrolled: 1-line block ×3, first 2 shown]
	s_waitcnt lgkmcnt(3)
	v_mul_f16_sdwa v0, v66, v2 dst_sel:DWORD dst_unused:UNUSED_PAD src0_sel:DWORD src1_sel:WORD_1
	v_fma_f16 v146, v18, v2, -v0
	v_mul_f16_sdwa v0, v18, v2 dst_sel:DWORD dst_unused:UNUSED_PAD src0_sel:DWORD src1_sel:WORD_1
	v_add_u16_e32 v18, 0x93, v8
	v_mul_lo_u16_sdwa v1, v18, v67 dst_sel:DWORD dst_unused:UNUSED_PAD src0_sel:BYTE_0 src1_sel:DWORD
	v_fma_f16 v147, v66, v2, v0
	v_sub_u16_sdwa v2, v18, v1 dst_sel:DWORD dst_unused:UNUSED_PAD src0_sel:DWORD src1_sel:BYTE_1
	v_lshrrev_b16_e32 v2, 1, v2
	v_and_b32_e32 v2, 0x7f, v2
	v_add_u16_sdwa v1, v2, v1 dst_sel:DWORD dst_unused:UNUSED_PAD src0_sel:DWORD src1_sel:BYTE_1
	v_lshrrev_b16_e32 v127, 2, v1
	v_mul_lo_u16_e32 v1, 7, v127
	ds_read_u16 v0, v9 offset:2744
	ds_read_u16 v66, v9 offset:2842
	;; [unrolled: 1-line block ×4, first 2 shown]
	v_sub_u16_e32 v128, v18, v1
	v_mul_u32_u24_sdwa v1, v128, v68 dst_sel:DWORD dst_unused:UNUSED_PAD src0_sel:BYTE_0 src1_sel:DWORD
	v_lshlrev_b32_e32 v87, 2, v1
	s_waitcnt lgkmcnt(3)
	v_mul_f16_sdwa v1, v0, v3 dst_sel:DWORD dst_unused:UNUSED_PAD src0_sel:DWORD src1_sel:WORD_1
	v_fma_f16 v148, v16, v3, -v1
	v_mul_f16_sdwa v1, v16, v3 dst_sel:DWORD dst_unused:UNUSED_PAD src0_sel:DWORD src1_sel:WORD_1
	v_add_u32_e32 v16, 0xc4, v8
	v_fma_f16 v149, v0, v3, v1
	v_mul_lo_u16_sdwa v0, v16, v67 dst_sel:DWORD dst_unused:UNUSED_PAD src0_sel:BYTE_0 src1_sel:DWORD
	v_sub_u16_sdwa v1, v16, v0 dst_sel:DWORD dst_unused:UNUSED_PAD src0_sel:DWORD src1_sel:BYTE_1
	global_load_dwordx4 v[76:79], v87, s[8:9]
	v_lshrrev_b16_e32 v1, 1, v1
	v_and_b32_e32 v1, 0x7f, v1
	ds_read_u16 v92, v9 offset:2352
	ds_read_u16 v98, v9 offset:2450
	;; [unrolled: 1-line block ×8, first 2 shown]
	v_add_u16_sdwa v0, v1, v0 dst_sel:DWORD dst_unused:UNUSED_PAD src0_sel:DWORD src1_sel:BYTE_1
	v_lshrrev_b16_e32 v131, 2, v0
	v_mul_lo_u16_e32 v0, 7, v131
	global_load_dwordx2 v[84:85], v69, s[8:9] offset:16
	global_load_dwordx2 v[142:143], v80, s[8:9] offset:16
	s_waitcnt vmcnt(5) lgkmcnt(3)
	v_mul_f16_sdwa v69, v88, v4 dst_sel:DWORD dst_unused:UNUSED_PAD src0_sel:DWORD src1_sel:WORD_1
	v_sub_u16_e32 v133, v16, v0
	v_fma_f16 v100, v14, v4, -v69
	v_mul_f16_sdwa v14, v14, v4 dst_sel:DWORD dst_unused:UNUSED_PAD src0_sel:DWORD src1_sel:WORD_1
	v_mul_u32_u24_sdwa v0, v133, v68 dst_sel:DWORD dst_unused:UNUSED_PAD src0_sel:BYTE_0 src1_sel:DWORD
	v_fma_f16 v105, v88, v4, v14
	v_mul_f16_sdwa v4, v70, v5 dst_sel:DWORD dst_unused:UNUSED_PAD src0_sel:DWORD src1_sel:WORD_1
	v_lshlrev_b32_e32 v67, 2, v0
	v_fma_f16 v103, v15, v5, -v4
	v_mul_f16_sdwa v4, v15, v5 dst_sel:DWORD dst_unused:UNUSED_PAD src0_sel:DWORD src1_sel:WORD_1
	v_add_u32_e32 v15, 0xf5, v8
	global_load_dwordx4 v[0:3], v67, s[8:9]
	v_fma_f16 v108, v70, v5, v4
	v_mul_u32_u24_sdwa v5, v15, s14 dst_sel:DWORD dst_unused:UNUSED_PAD src0_sel:WORD_0 src1_sel:DWORD
	v_sub_u16_sdwa v14, v15, v5 dst_sel:DWORD dst_unused:UNUSED_PAD src0_sel:DWORD src1_sel:WORD_1
	v_lshrrev_b16_e32 v14, 1, v14
	v_add_u16_sdwa v5, v14, v5 dst_sel:DWORD dst_unused:UNUSED_PAD src0_sel:DWORD src1_sel:WORD_1
	v_lshrrev_b16_e32 v135, 2, v5
	v_mul_lo_u16_e32 v5, 7, v135
	v_sub_u16_e32 v136, v15, v5
	v_mul_u32_u24_e32 v5, 6, v136
	v_lshlrev_b32_e32 v5, 2, v5
	global_load_dwordx4 v[115:118], v5, s[8:9]
	v_mul_f16_sdwa v4, v81, v6 dst_sel:DWORD dst_unused:UNUSED_PAD src0_sel:DWORD src1_sel:WORD_1
	v_fma_f16 v111, v65, v6, -v4
	v_mul_f16_sdwa v4, v65, v6 dst_sel:DWORD dst_unused:UNUSED_PAD src0_sel:DWORD src1_sel:WORD_1
	v_fma_f16 v112, v81, v6, v4
	v_mul_f16_sdwa v4, v66, v7 dst_sel:DWORD dst_unused:UNUSED_PAD src0_sel:DWORD src1_sel:WORD_1
	v_add_u32_e32 v14, 0x126, v8
	v_fma_f16 v113, v64, v7, -v4
	v_mul_f16_sdwa v4, v64, v7 dst_sel:DWORD dst_unused:UNUSED_PAD src0_sel:DWORD src1_sel:WORD_1
	v_mul_u32_u24_sdwa v6, v14, s14 dst_sel:DWORD dst_unused:UNUSED_PAD src0_sel:WORD_0 src1_sel:DWORD
	v_fma_f16 v114, v66, v7, v4
	v_sub_u16_sdwa v7, v14, v6 dst_sel:DWORD dst_unused:UNUSED_PAD src0_sel:DWORD src1_sel:WORD_1
	v_lshrrev_b16_e32 v7, 1, v7
	v_add_u16_sdwa v6, v7, v6 dst_sel:DWORD dst_unused:UNUSED_PAD src0_sel:DWORD src1_sel:WORD_1
	v_lshrrev_b16_e32 v6, 2, v6
	v_mul_lo_u16_e32 v7, 7, v6
	s_waitcnt vmcnt(5) lgkmcnt(2)
	v_mul_f16_sdwa v4, v89, v72 dst_sel:DWORD dst_unused:UNUSED_PAD src0_sel:DWORD src1_sel:WORD_1
	v_sub_u16_e32 v7, v14, v7
	ds_read_u16 v68, v9 offset:1176
	v_mul_u32_u24_e32 v64, 6, v7
	v_fma_f16 v95, v63, v72, -v4
	v_mul_f16_sdwa v4, v63, v72 dst_sel:DWORD dst_unused:UNUSED_PAD src0_sel:DWORD src1_sel:WORD_1
	ds_read_u16 v63, v9 offset:1568
	v_lshlrev_b32_e32 v64, 2, v64
	global_load_dwordx4 v[119:122], v64, s[8:9]
	v_fma_f16 v97, v89, v72, v4
	ds_read_u16 v4, v9 offset:1666
	ds_read_u16 v65, v9 offset:1764
	;; [unrolled: 1-line block ×3, first 2 shown]
	s_waitcnt lgkmcnt(3)
	v_mul_f16_sdwa v69, v63, v73 dst_sel:DWORD dst_unused:UNUSED_PAD src0_sel:DWORD src1_sel:WORD_1
	v_fma_f16 v99, v62, v73, -v69
	v_mul_f16_sdwa v62, v62, v73 dst_sel:DWORD dst_unused:UNUSED_PAD src0_sel:DWORD src1_sel:WORD_1
	v_fma_f16 v104, v63, v73, v62
	v_mul_f16_sdwa v62, v82, v74 dst_sel:DWORD dst_unused:UNUSED_PAD src0_sel:DWORD src1_sel:WORD_1
	v_fma_f16 v102, v58, v74, -v62
	v_mul_f16_sdwa v58, v58, v74 dst_sel:DWORD dst_unused:UNUSED_PAD src0_sel:DWORD src1_sel:WORD_1
	v_fma_f16 v107, v82, v74, v58
	;; [unrolled: 4-line block ×3, first 2 shown]
	global_load_dwordx2 v[57:58], v87, s[8:9] offset:16
	s_movk_i32 s14, 0x2b26
	v_mul_u32_u24_e32 v6, 0x62, v6
	v_lshlrev_b32_e32 v7, 1, v7
	s_waitcnt vmcnt(6)
	v_mul_f16_sdwa v62, v90, v76 dst_sel:DWORD dst_unused:UNUSED_PAD src0_sel:DWORD src1_sel:WORD_1
	v_fma_f16 v87, v60, v76, -v62
	v_mul_f16_sdwa v60, v60, v76 dst_sel:DWORD dst_unused:UNUSED_PAD src0_sel:DWORD src1_sel:WORD_1
	v_fma_f16 v89, v90, v76, v60
	s_waitcnt lgkmcnt(2)
	v_mul_f16_sdwa v60, v4, v77 dst_sel:DWORD dst_unused:UNUSED_PAD src0_sel:DWORD src1_sel:WORD_1
	v_fma_f16 v88, v61, v77, -v60
	v_mul_f16_sdwa v60, v61, v77 dst_sel:DWORD dst_unused:UNUSED_PAD src0_sel:DWORD src1_sel:WORD_1
	v_fma_f16 v91, v4, v77, v60
	v_mul_f16_sdwa v4, v92, v78 dst_sel:DWORD dst_unused:UNUSED_PAD src0_sel:DWORD src1_sel:WORD_1
	v_fma_f16 v90, v59, v78, -v4
	v_mul_f16_sdwa v4, v59, v78 dst_sel:DWORD dst_unused:UNUSED_PAD src0_sel:DWORD src1_sel:WORD_1
	v_fma_f16 v92, v92, v78, v4
	;; [unrolled: 4-line block ×3, first 2 shown]
	global_load_dwordx2 v[59:60], v67, s[8:9] offset:16
	s_waitcnt vmcnt(4)
	v_mul_f16_sdwa v4, v123, v0 dst_sel:DWORD dst_unused:UNUSED_PAD src0_sel:DWORD src1_sel:WORD_1
	v_fma_f16 v76, v55, v0, -v4
	v_mul_f16_sdwa v4, v55, v0 dst_sel:DWORD dst_unused:UNUSED_PAD src0_sel:DWORD src1_sel:WORD_1
	v_fma_f16 v78, v123, v0, v4
	s_waitcnt lgkmcnt(1)
	v_mul_f16_sdwa v0, v65, v1 dst_sel:DWORD dst_unused:UNUSED_PAD src0_sel:DWORD src1_sel:WORD_1
	v_fma_f16 v77, v56, v1, -v0
	v_mul_f16_sdwa v0, v56, v1 dst_sel:DWORD dst_unused:UNUSED_PAD src0_sel:DWORD src1_sel:WORD_1
	v_fma_f16 v80, v65, v1, v0
	v_mul_f16_sdwa v0, v98, v2 dst_sel:DWORD dst_unused:UNUSED_PAD src0_sel:DWORD src1_sel:WORD_1
	v_fma_f16 v79, v54, v2, -v0
	v_mul_f16_sdwa v0, v54, v2 dst_sel:DWORD dst_unused:UNUSED_PAD src0_sel:DWORD src1_sel:WORD_1
	v_fma_f16 v81, v98, v2, v0
	ds_read_u16 v0, v9 offset:3136
	ds_read_u16 v1, v9 offset:3234
	;; [unrolled: 1-line block ×8, first 2 shown]
	global_load_dwordx2 v[53:54], v5, s[8:9] offset:16
	s_waitcnt lgkmcnt(7)
	v_mul_f16_sdwa v2, v0, v3 dst_sel:DWORD dst_unused:UNUSED_PAD src0_sel:DWORD src1_sel:WORD_1
	v_fma_f16 v82, v50, v3, -v2
	v_mul_f16_sdwa v2, v50, v3 dst_sel:DWORD dst_unused:UNUSED_PAD src0_sel:DWORD src1_sel:WORD_1
	v_fma_f16 v83, v0, v3, v2
	s_waitcnt vmcnt(4)
	v_mul_f16_sdwa v0, v68, v115 dst_sel:DWORD dst_unused:UNUSED_PAD src0_sel:DWORD src1_sel:WORD_1
	v_fma_f16 v67, v44, v115, -v0
	v_mul_f16_sdwa v0, v44, v115 dst_sel:DWORD dst_unused:UNUSED_PAD src0_sel:DWORD src1_sel:WORD_1
	v_fma_f16 v69, v68, v115, v0
	v_mul_f16_sdwa v0, v66, v116 dst_sel:DWORD dst_unused:UNUSED_PAD src0_sel:DWORD src1_sel:WORD_1
	v_fma_f16 v68, v45, v116, -v0
	v_mul_f16_sdwa v0, v45, v116 dst_sel:DWORD dst_unused:UNUSED_PAD src0_sel:DWORD src1_sel:WORD_1
	global_load_dwordx2 v[44:45], v64, s[8:9] offset:16
	v_fma_f16 v72, v66, v116, v0
	v_mul_f16_sdwa v0, v101, v117 dst_sel:DWORD dst_unused:UNUSED_PAD src0_sel:DWORD src1_sel:WORD_1
	v_fma_f16 v70, v43, v117, -v0
	v_mul_f16_sdwa v0, v43, v117 dst_sel:DWORD dst_unused:UNUSED_PAD src0_sel:DWORD src1_sel:WORD_1
	v_fma_f16 v73, v101, v117, v0
	s_waitcnt lgkmcnt(6)
	v_mul_f16_sdwa v0, v1, v118 dst_sel:DWORD dst_unused:UNUSED_PAD src0_sel:DWORD src1_sel:WORD_1
	v_fma_f16 v74, v42, v118, -v0
	v_mul_f16_sdwa v0, v42, v118 dst_sel:DWORD dst_unused:UNUSED_PAD src0_sel:DWORD src1_sel:WORD_1
	v_fma_f16 v75, v1, v118, v0
	s_waitcnt vmcnt(4) lgkmcnt(5)
	v_mul_f16_sdwa v42, v55, v122 dst_sel:DWORD dst_unused:UNUSED_PAD src0_sel:DWORD src1_sel:WORD_1
	v_fma_f16 v65, v46, v122, -v42
	v_mul_f16_sdwa v42, v46, v122 dst_sel:DWORD dst_unused:UNUSED_PAD src0_sel:DWORD src1_sel:WORD_1
	v_mul_f16_sdwa v1, v49, v119 dst_sel:DWORD dst_unused:UNUSED_PAD src0_sel:DWORD src1_sel:WORD_1
	;; [unrolled: 1-line block ×3, first 2 shown]
	v_fma_f16 v66, v55, v122, v42
	s_waitcnt lgkmcnt(4)
	v_mul_f16_sdwa v42, v56, v12 dst_sel:DWORD dst_unused:UNUSED_PAD src0_sel:DWORD src1_sel:WORD_1
	v_mul_f16_sdwa v0, v86, v119 dst_sel:DWORD dst_unused:UNUSED_PAD src0_sel:DWORD src1_sel:WORD_1
	v_fma_f16 v2, v86, v119, v1
	v_mul_f16_sdwa v1, v96, v120 dst_sel:DWORD dst_unused:UNUSED_PAD src0_sel:DWORD src1_sel:WORD_1
	v_fma_f16 v4, v96, v120, v3
	v_mul_f16_sdwa v3, v106, v121 dst_sel:DWORD dst_unused:UNUSED_PAD src0_sel:DWORD src1_sel:WORD_1
	v_fma_f16 v42, v41, v12, -v42
	v_mul_f16_sdwa v41, v41, v12 dst_sel:DWORD dst_unused:UNUSED_PAD src0_sel:DWORD src1_sel:WORD_1
	v_fma_f16 v0, v49, v119, -v0
	v_fma_f16 v1, v48, v120, -v1
	;; [unrolled: 1-line block ×3, first 2 shown]
	v_mul_f16_sdwa v5, v47, v121 dst_sel:DWORD dst_unused:UNUSED_PAD src0_sel:DWORD src1_sel:WORD_1
	v_fma_f16 v41, v56, v12, v41
	ds_read_u16 v12, v9 offset:3920
	ds_read_u16 v43, v9 offset:4116
	;; [unrolled: 1-line block ×8, first 2 shown]
	s_waitcnt lgkmcnt(6)
	v_mul_f16_sdwa v56, v43, v13 dst_sel:DWORD dst_unused:UNUSED_PAD src0_sel:DWORD src1_sel:WORD_1
	v_fma_f16 v56, v40, v13, -v56
	v_mul_f16_sdwa v40, v40, v13 dst_sel:DWORD dst_unused:UNUSED_PAD src0_sel:DWORD src1_sel:WORD_1
	v_fma_f16 v13, v43, v13, v40
	v_mul_f16_sdwa v40, v61, v84 dst_sel:DWORD dst_unused:UNUSED_PAD src0_sel:DWORD src1_sel:WORD_1
	v_fma_f16 v138, v39, v84, -v40
	v_mul_f16_sdwa v39, v39, v84 dst_sel:DWORD dst_unused:UNUSED_PAD src0_sel:DWORD src1_sel:WORD_1
	v_fma_f16 v139, v61, v84, v39
	s_waitcnt lgkmcnt(5)
	v_mul_f16_sdwa v39, v46, v85 dst_sel:DWORD dst_unused:UNUSED_PAD src0_sel:DWORD src1_sel:WORD_1
	v_fma_f16 v140, v38, v85, -v39
	v_mul_f16_sdwa v38, v38, v85 dst_sel:DWORD dst_unused:UNUSED_PAD src0_sel:DWORD src1_sel:WORD_1
	v_fma_f16 v141, v46, v85, v38
	v_mul_f16_sdwa v38, v62, v142 dst_sel:DWORD dst_unused:UNUSED_PAD src0_sel:DWORD src1_sel:WORD_1
	v_fma_f16 v129, v29, v142, -v38
	v_mul_f16_sdwa v29, v29, v142 dst_sel:DWORD dst_unused:UNUSED_PAD src0_sel:DWORD src1_sel:WORD_1
	v_fma_f16 v130, v62, v142, v29
	s_waitcnt lgkmcnt(4)
	v_mul_f16_sdwa v29, v47, v143 dst_sel:DWORD dst_unused:UNUSED_PAD src0_sel:DWORD src1_sel:WORD_1
	v_fma_f16 v132, v35, v143, -v29
	v_mul_f16_sdwa v29, v35, v143 dst_sel:DWORD dst_unused:UNUSED_PAD src0_sel:DWORD src1_sel:WORD_1
	v_fma_f16 v134, v47, v143, v29
	s_waitcnt vmcnt(3)
	v_mul_f16_sdwa v29, v63, v57 dst_sel:DWORD dst_unused:UNUSED_PAD src0_sel:DWORD src1_sel:WORD_1
	v_fma_f16 v120, v27, v57, -v29
	v_mul_f16_sdwa v27, v27, v57 dst_sel:DWORD dst_unused:UNUSED_PAD src0_sel:DWORD src1_sel:WORD_1
	v_fma_f16 v5, v106, v121, v5
	v_fma_f16 v121, v63, v57, v27
	s_waitcnt lgkmcnt(3)
	v_mul_f16_sdwa v27, v48, v58 dst_sel:DWORD dst_unused:UNUSED_PAD src0_sel:DWORD src1_sel:WORD_1
	v_fma_f16 v122, v34, v58, -v27
	v_mul_f16_sdwa v27, v34, v58 dst_sel:DWORD dst_unused:UNUSED_PAD src0_sel:DWORD src1_sel:WORD_1
	v_fma_f16 v123, v48, v58, v27
	s_waitcnt vmcnt(2)
	v_mul_f16_sdwa v27, v98, v59 dst_sel:DWORD dst_unused:UNUSED_PAD src0_sel:DWORD src1_sel:WORD_1
	v_fma_f16 v115, v26, v59, -v27
	v_mul_f16_sdwa v26, v26, v59 dst_sel:DWORD dst_unused:UNUSED_PAD src0_sel:DWORD src1_sel:WORD_1
	v_fma_f16 v116, v98, v59, v26
	s_waitcnt lgkmcnt(2)
	v_mul_f16_sdwa v26, v49, v60 dst_sel:DWORD dst_unused:UNUSED_PAD src0_sel:DWORD src1_sel:WORD_1
	v_fma_f16 v117, v31, v60, -v26
	v_mul_f16_sdwa v26, v31, v60 dst_sel:DWORD dst_unused:UNUSED_PAD src0_sel:DWORD src1_sel:WORD_1
	v_fma_f16 v118, v49, v60, v26
	v_add_f16_e32 v29, v144, v42
	s_waitcnt vmcnt(1)
	v_mul_f16_sdwa v26, v12, v53 dst_sel:DWORD dst_unused:UNUSED_PAD src0_sel:DWORD src1_sel:WORD_1
	v_fma_f16 v96, v28, v53, -v26
	v_mul_f16_sdwa v26, v28, v53 dst_sel:DWORD dst_unused:UNUSED_PAD src0_sel:DWORD src1_sel:WORD_1
	v_fma_f16 v98, v12, v53, v26
	ds_read_u16 v26, v9 offset:4704
	s_waitcnt lgkmcnt(2)
	v_mul_f16_sdwa v12, v50, v54 dst_sel:DWORD dst_unused:UNUSED_PAD src0_sel:DWORD src1_sel:WORD_1
	v_fma_f16 v101, v30, v54, -v12
	v_mul_f16_sdwa v12, v30, v54 dst_sel:DWORD dst_unused:UNUSED_PAD src0_sel:DWORD src1_sel:WORD_1
	v_fma_f16 v106, v50, v54, v12
	v_add_f16_e32 v28, v137, v13
	v_add_f16_e32 v31, v145, v41
	v_sub_f16_e32 v30, v144, v42
	s_waitcnt vmcnt(0)
	v_mul_f16_sdwa v27, v33, v44 dst_sel:DWORD dst_unused:UNUSED_PAD src0_sel:DWORD src1_sel:WORD_1
	s_waitcnt lgkmcnt(1)
	v_fma_f16 v84, v55, v44, v27
	s_waitcnt lgkmcnt(0)
	v_mul_f16_sdwa v27, v26, v45 dst_sel:DWORD dst_unused:UNUSED_PAD src0_sel:DWORD src1_sel:WORD_1
	v_fma_f16 v85, v32, v45, -v27
	v_mul_f16_sdwa v27, v32, v45 dst_sel:DWORD dst_unused:UNUSED_PAD src0_sel:DWORD src1_sel:WORD_1
	v_mul_f16_sdwa v12, v55, v44 dst_sel:DWORD dst_unused:UNUSED_PAD src0_sel:DWORD src1_sel:WORD_1
	v_fma_f16 v86, v26, v45, v27
	v_add_f16_e32 v26, v126, v56
	v_fma_f16 v12, v33, v44, -v12
	v_add_f16_e32 v33, v146, v148
	v_add_f16_e32 v39, v29, v26
	v_sub_f16_e32 v34, v148, v146
	v_add_f16_e32 v35, v147, v149
	v_sub_f16_e32 v40, v29, v26
	v_sub_f16_e32 v26, v26, v33
	;; [unrolled: 1-line block ×3, first 2 shown]
	v_add_f16_e32 v33, v33, v39
	v_add_f16_e32 v39, v31, v28
	v_sub_f16_e32 v27, v126, v56
	v_sub_f16_e32 v32, v145, v41
	;; [unrolled: 1-line block ×6, first 2 shown]
	v_add_f16_e32 v35, v35, v39
	v_add_f16_e32 v39, v34, v30
	v_sub_f16_e32 v13, v137, v13
	v_sub_f16_e32 v42, v34, v30
	;; [unrolled: 1-line block ×4, first 2 shown]
	v_add_f16_e32 v27, v39, v27
	v_add_f16_e32 v39, v38, v32
	v_sub_f16_e32 v43, v38, v32
	v_sub_f16_e32 v38, v13, v38
	;; [unrolled: 1-line block ×3, first 2 shown]
	v_add_f16_e32 v13, v39, v13
	v_mul_f16_e32 v26, 0x3a52, v26
	v_mul_f16_e32 v39, 0x2b26, v29
	v_fma_f16 v29, v29, s14, v26
	v_fma_f16 v39, v40, s10, -v39
	v_fma_f16 v26, v40, s11, -v26
	v_mul_f16_e32 v28, 0x3a52, v28
	v_mul_f16_e32 v40, 0x2b26, v31
	v_add_f16_e32 v25, v25, v33
	v_fma_f16 v31, v31, s14, v28
	v_fma_f16 v40, v41, s10, -v40
	v_fma_f16 v28, v41, s11, -v28
	v_mul_f16_e32 v41, 0xb846, v42
	v_mul_f16_e32 v42, 0x3b00, v30
	v_fma_f16 v33, v33, s5, v25
	v_fma_f16 v30, v30, s7, -v41
	v_fma_f16 v41, v34, s13, v41
	v_fma_f16 v34, v34, s12, -v42
	v_mul_f16_e32 v42, 0xb846, v43
	v_mul_f16_e32 v43, 0x3b00, v32
	v_add_f16_e32 v29, v29, v33
	v_add_f16_e32 v39, v39, v33
	;; [unrolled: 1-line block ×3, first 2 shown]
	ds_read_u16 v33, v9
	ds_read_u16 v142, v9 offset:98
	ds_read_u16 v143, v9 offset:196
	ds_read_u16 v137, v9 offset:294
	ds_read_u16 v126, v9 offset:392
	ds_read_u16 v119, v9 offset:490
	s_waitcnt lgkmcnt(5)
	v_add_f16_e32 v144, v33, v35
	v_fma_f16 v32, v32, s7, -v42
	v_fma_f16 v42, v38, s13, v42
	v_fma_f16 v38, v38, s12, -v43
	v_fma_f16 v33, v35, s5, v144
	v_add_f16_e32 v31, v31, v33
	v_add_f16_e32 v35, v40, v33
	;; [unrolled: 1-line block ×3, first 2 shown]
	v_fma_f16 v33, v27, s4, v41
	v_fma_f16 v30, v27, s4, v30
	;; [unrolled: 1-line block ×6, first 2 shown]
	v_add_f16_e32 v145, v30, v35
	v_sub_f16_e32 v146, v35, v30
	v_add_f16_e32 v30, v13, v26
	v_sub_f16_e32 v13, v26, v13
	v_sub_f16_e32 v147, v28, v27
	v_add_f16_e32 v148, v27, v28
	v_add_f16_e32 v26, v34, v29
	v_sub_f16_e32 v27, v29, v34
	v_add_f16_e32 v28, v100, v140
	v_add_f16_e32 v29, v103, v138
	v_sub_f16_e32 v38, v39, v32
	v_add_f16_e32 v32, v32, v39
	v_sub_f16_e32 v149, v31, v33
	v_add_f16_e32 v150, v33, v31
	v_add_f16_e32 v31, v111, v113
	v_add_f16_e32 v33, v29, v28
	v_sub_f16_e32 v35, v108, v139
	v_sub_f16_e32 v39, v114, v112
	v_sub_f16_e32 v34, v29, v28
	v_sub_f16_e32 v28, v28, v31
	v_sub_f16_e32 v29, v31, v29
	v_add_f16_e32 v31, v31, v33
	v_sub_f16_e32 v33, v105, v141
	v_add_f16_e32 v40, v39, v35
	v_sub_f16_e32 v41, v39, v35
	v_sub_f16_e32 v39, v33, v39
	v_sub_f16_e32 v35, v35, v33
	v_add_f16_e32 v33, v40, v33
	v_mul_f16_e32 v28, 0x3a52, v28
	v_mul_f16_e32 v40, 0x2b26, v29
	v_fma_f16 v29, v29, s14, v28
	v_fma_f16 v40, v34, s10, -v40
	v_fma_f16 v28, v34, s11, -v28
	v_mul_f16_e32 v34, 0xb846, v41
	v_mul_f16_e32 v41, 0x3b00, v35
	v_add_f16_e32 v24, v24, v31
	v_fma_f16 v35, v35, s7, -v34
	v_fma_f16 v34, v39, s13, v34
	v_fma_f16 v39, v39, s12, -v41
	v_fma_f16 v31, v31, s5, v24
	v_add_f16_e32 v29, v29, v31
	v_add_f16_e32 v40, v40, v31
	v_add_f16_e32 v28, v28, v31
	v_fma_f16 v31, v33, s4, v34
	v_fma_f16 v34, v33, s4, v35
	v_fma_f16 v33, v33, s4, v39
	v_sub_f16_e32 v35, v40, v34
	v_add_f16_e32 v34, v34, v40
	v_add_f16_e32 v39, v33, v28
	v_sub_f16_e32 v28, v28, v33
	v_add_f16_e32 v33, v31, v29
	v_sub_f16_e32 v29, v29, v31
	v_add_f16_e32 v31, v95, v132
	v_add_f16_e32 v40, v99, v129
	v_add_f16_e32 v41, v102, v109
	v_add_f16_e32 v42, v40, v31
	v_sub_f16_e32 v44, v104, v130
	v_sub_f16_e32 v45, v110, v107
	v_sub_f16_e32 v43, v40, v31
	v_sub_f16_e32 v31, v31, v41
	v_sub_f16_e32 v40, v41, v40
	v_add_f16_e32 v41, v41, v42
	v_sub_f16_e32 v42, v97, v134
	v_add_f16_e32 v46, v45, v44
	v_sub_f16_e32 v47, v45, v44
	v_sub_f16_e32 v45, v42, v45
	v_sub_f16_e32 v44, v44, v42
	v_add_f16_e32 v42, v46, v42
	v_mul_f16_e32 v31, 0x3a52, v31
	v_mul_f16_e32 v46, 0x2b26, v40
	v_fma_f16 v40, v40, s14, v31
	v_fma_f16 v46, v43, s10, -v46
	v_fma_f16 v31, v43, s11, -v31
	v_mul_f16_e32 v43, 0xb846, v47
	v_mul_f16_e32 v47, 0x3b00, v44
	v_add_f16_e32 v23, v23, v41
	v_fma_f16 v44, v44, s7, -v43
	v_fma_f16 v43, v45, s13, v43
	v_fma_f16 v45, v45, s12, -v47
	v_fma_f16 v41, v41, s5, v23
	v_add_f16_e32 v40, v40, v41
	v_add_f16_e32 v46, v46, v41
	v_add_f16_e32 v31, v31, v41
	v_fma_f16 v41, v42, s4, v43
	v_fma_f16 v43, v42, s4, v44
	v_fma_f16 v42, v42, s4, v45
	v_sub_f16_e32 v44, v46, v43
	v_add_f16_e32 v43, v43, v46
	v_add_f16_e32 v45, v42, v31
	v_sub_f16_e32 v31, v31, v42
	v_add_f16_e32 v42, v41, v40
	v_sub_f16_e32 v40, v40, v41
	v_add_f16_e32 v41, v87, v122
	;; [unrolled: 40-line block ×5, first 2 shown]
	v_add_f16_e32 v152, v1, v12
	v_add_f16_e32 v153, v3, v65
	;; [unrolled: 1-line block ×3, first 2 shown]
	v_sub_f16_e32 v156, v4, v84
	v_sub_f16_e32 v157, v66, v5
	;; [unrolled: 1-line block ×5, first 2 shown]
	v_add_f16_e32 v153, v153, v154
	v_sub_f16_e32 v154, v2, v86
	v_add_f16_e32 v158, v157, v156
	v_sub_f16_e32 v159, v157, v156
	v_sub_f16_e32 v157, v154, v157
	;; [unrolled: 1-line block ×3, first 2 shown]
	v_add_f16_e32 v154, v158, v154
	v_mul_f16_e32 v61, 0x3a52, v61
	v_mul_f16_e32 v158, 0x2b26, v152
	v_fma_f16 v152, v152, s14, v61
	v_fma_f16 v158, v155, s10, -v158
	v_fma_f16 v61, v155, s11, -v61
	v_mul_f16_e32 v155, 0xb846, v159
	v_mul_f16_e32 v159, 0x3b00, v156
	v_add_f16_e32 v19, v19, v153
	v_fma_f16 v156, v156, s7, -v155
	v_fma_f16 v155, v157, s13, v155
	v_fma_f16 v157, v157, s12, -v159
	v_fma_f16 v153, v153, s5, v19
	v_add_f16_e32 v152, v152, v153
	v_add_f16_e32 v158, v158, v153
	;; [unrolled: 1-line block ×3, first 2 shown]
	v_fma_f16 v153, v154, s4, v155
	v_fma_f16 v155, v154, s4, v156
	;; [unrolled: 1-line block ×3, first 2 shown]
	v_add_f16_e32 v157, v154, v61
	v_sub_f16_e32 v61, v61, v154
	v_add_f16_e32 v154, v153, v152
	v_sub_f16_e32 v152, v152, v153
	v_mov_b32_e32 v153, 1
	v_lshlrev_b32_sdwa v37, v153, v37 dst_sel:DWORD dst_unused:UNUSED_PAD src0_sel:DWORD src1_sel:BYTE_0
	v_sub_f16_e32 v156, v158, v155
	v_add_f16_e32 v155, v155, v158
	v_add3_u32 v158, 0, v36, v37
	s_waitcnt lgkmcnt(0)
	; wave barrier
	s_waitcnt lgkmcnt(0)
	ds_write_b16 v158, v25
	ds_write_b16 v158, v26 offset:14
	ds_write_b16 v158, v30 offset:28
	;; [unrolled: 1-line block ×6, first 2 shown]
	v_mul_u32_u24_e32 v13, 0x62, v51
	v_lshlrev_b32_sdwa v25, v153, v52 dst_sel:DWORD dst_unused:UNUSED_PAD src0_sel:DWORD src1_sel:BYTE_0
	v_add3_u32 v159, 0, v13, v25
	ds_write_b16 v159, v24
	ds_write_b16 v159, v33 offset:14
	ds_write_b16 v159, v39 offset:28
	;; [unrolled: 1-line block ×6, first 2 shown]
	v_mul_u32_u24_e32 v13, 0x62, v124
	v_lshlrev_b32_sdwa v24, v153, v125 dst_sel:DWORD dst_unused:UNUSED_PAD src0_sel:DWORD src1_sel:BYTE_0
	v_add_f16_e32 v105, v105, v141
	v_add_f16_e32 v108, v108, v139
	v_add3_u32 v124, 0, v13, v24
	v_sub_f16_e32 v103, v103, v138
	v_add_f16_e32 v112, v112, v114
	v_sub_f16_e32 v111, v113, v111
	v_add_f16_e32 v113, v108, v105
	ds_write_b16 v124, v23
	ds_write_b16 v124, v42 offset:14
	ds_write_b16 v124, v45 offset:28
	;; [unrolled: 1-line block ×6, first 2 shown]
	v_mul_u32_u24_e32 v13, 0x62, v127
	v_lshlrev_b32_sdwa v23, v153, v128 dst_sel:DWORD dst_unused:UNUSED_PAD src0_sel:DWORD src1_sel:BYTE_0
	v_sub_f16_e32 v100, v100, v140
	v_sub_f16_e32 v114, v108, v105
	;; [unrolled: 1-line block ×4, first 2 shown]
	v_add_f16_e32 v112, v112, v113
	v_add_f16_e32 v113, v111, v103
	v_add3_u32 v125, 0, v13, v23
	v_lshlrev_b32_sdwa v13, v153, v133 dst_sel:DWORD dst_unused:UNUSED_PAD src0_sel:DWORD src1_sel:BYTE_0
	v_sub_f16_e32 v133, v111, v103
	v_sub_f16_e32 v111, v100, v111
	;; [unrolled: 1-line block ×3, first 2 shown]
	v_add_f16_e32 v100, v113, v100
	v_mul_f16_e32 v105, 0x3a52, v105
	v_mul_f16_e32 v113, 0x2b26, v108
	v_fma_f16 v108, v108, s14, v105
	v_fma_f16 v113, v114, s10, -v113
	v_fma_f16 v105, v114, s11, -v105
	v_mul_f16_e32 v114, 0xb846, v133
	v_mul_f16_e32 v133, 0x3b00, v103
	ds_write_b16 v125, v22
	ds_write_b16 v125, v48 offset:14
	ds_write_b16 v125, v53 offset:28
	;; [unrolled: 1-line block ×6, first 2 shown]
	v_mul_u32_u24_e32 v22, 0x62, v131
	v_fma_f16 v103, v103, s7, -v114
	v_fma_f16 v114, v111, s13, v114
	v_fma_f16 v111, v111, s12, -v133
	v_add_f16_e32 v133, v142, v112
	v_add3_u32 v127, 0, v22, v13
	v_fma_f16 v112, v112, s5, v133
	ds_write_b16 v127, v21
	ds_write_b16 v127, v56 offset:14
	ds_write_b16 v127, v59 offset:28
	;; [unrolled: 1-line block ×6, first 2 shown]
	v_mul_u32_u24_e32 v13, 0x62, v135
	v_lshlrev_b32_e32 v21, 1, v136
	v_add_f16_e32 v108, v108, v112
	v_add_f16_e32 v113, v113, v112
	;; [unrolled: 1-line block ×3, first 2 shown]
	v_fma_f16 v112, v100, s4, v114
	v_fma_f16 v103, v100, s4, v103
	;; [unrolled: 1-line block ×3, first 2 shown]
	v_add3_u32 v128, 0, v13, v21
	v_add3_u32 v131, 0, v6, v7
	v_add_f16_e32 v111, v103, v113
	v_sub_f16_e32 v103, v113, v103
	v_sub_f16_e32 v113, v105, v100
	v_add_f16_e32 v100, v100, v105
	ds_write_b16 v128, v20
	ds_write_b16 v128, v62 offset:14
	ds_write_b16 v128, v151 offset:28
	;; [unrolled: 1-line block ×6, first 2 shown]
	ds_write_b16 v131, v19
	ds_write_b16 v131, v154 offset:14
	ds_write_b16 v131, v157 offset:28
	;; [unrolled: 1-line block ×6, first 2 shown]
	s_waitcnt lgkmcnt(0)
	; wave barrier
	s_waitcnt lgkmcnt(0)
	ds_read_u16 v48, v9 offset:2254
	ds_read_u16 v47, v9 offset:2940
	;; [unrolled: 1-line block ×6, first 2 shown]
	ds_read_u16 v22, v9
	ds_read_u16 v21, v9 offset:98
	ds_read_u16 v20, v9 offset:196
	;; [unrolled: 1-line block ×42, first 2 shown]
	s_waitcnt lgkmcnt(0)
	; wave barrier
	s_waitcnt lgkmcnt(0)
	ds_write_b16 v158, v144
	ds_write_b16 v158, v149 offset:14
	ds_write_b16 v158, v147 offset:28
	;; [unrolled: 1-line block ×6, first 2 shown]
	v_sub_f16_e32 v105, v108, v112
	v_add_f16_e32 v108, v112, v108
	ds_write_b16 v159, v133
	ds_write_b16 v159, v105 offset:14
	ds_write_b16 v159, v113 offset:28
	;; [unrolled: 1-line block ×6, first 2 shown]
	v_add_f16_e32 v97, v97, v134
	v_add_f16_e32 v100, v104, v130
	v_sub_f16_e32 v99, v99, v129
	v_add_f16_e32 v103, v107, v110
	v_sub_f16_e32 v102, v109, v102
	;; [unrolled: 2-line block ×3, first 2 shown]
	v_sub_f16_e32 v105, v100, v97
	v_sub_f16_e32 v97, v97, v103
	;; [unrolled: 1-line block ×3, first 2 shown]
	v_add_f16_e32 v103, v103, v104
	v_add_f16_e32 v104, v102, v99
	v_sub_f16_e32 v107, v102, v99
	v_sub_f16_e32 v102, v95, v102
	;; [unrolled: 1-line block ×3, first 2 shown]
	v_add_f16_e32 v95, v104, v95
	v_mul_f16_e32 v97, 0x3a52, v97
	v_mul_f16_e32 v104, 0x2b26, v100
	v_fma_f16 v100, v100, s14, v97
	v_fma_f16 v104, v105, s10, -v104
	v_fma_f16 v97, v105, s11, -v97
	v_mul_f16_e32 v105, 0xb846, v107
	v_mul_f16_e32 v107, 0x3b00, v99
	v_fma_f16 v99, v99, s7, -v105
	v_fma_f16 v105, v102, s13, v105
	v_fma_f16 v102, v102, s12, -v107
	v_add_f16_e32 v107, v143, v103
	v_fma_f16 v103, v103, s5, v107
	v_add_f16_e32 v89, v89, v123
	v_add_f16_e32 v91, v91, v121
	;; [unrolled: 1-line block ×5, first 2 shown]
	v_fma_f16 v103, v95, s4, v105
	v_fma_f16 v99, v95, s4, v99
	;; [unrolled: 1-line block ×3, first 2 shown]
	v_sub_f16_e32 v88, v88, v120
	v_add_f16_e32 v92, v92, v94
	v_sub_f16_e32 v90, v93, v90
	v_add_f16_e32 v93, v91, v89
	v_add_f16_e32 v102, v99, v104
	v_sub_f16_e32 v99, v104, v99
	v_sub_f16_e32 v104, v97, v95
	v_add_f16_e32 v95, v95, v97
	v_sub_f16_e32 v87, v87, v122
	v_sub_f16_e32 v94, v91, v89
	;; [unrolled: 1-line block ×4, first 2 shown]
	v_add_f16_e32 v92, v92, v93
	v_add_f16_e32 v93, v90, v88
	v_sub_f16_e32 v97, v100, v103
	v_add_f16_e32 v100, v103, v100
	ds_write_b16 v124, v107
	ds_write_b16 v124, v97 offset:14
	ds_write_b16 v124, v104 offset:28
	;; [unrolled: 1-line block ×6, first 2 shown]
	v_sub_f16_e32 v95, v90, v88
	v_sub_f16_e32 v90, v87, v90
	;; [unrolled: 1-line block ×3, first 2 shown]
	v_add_f16_e32 v87, v93, v87
	v_mul_f16_e32 v89, 0x3a52, v89
	v_mul_f16_e32 v93, 0x2b26, v91
	v_fma_f16 v91, v91, s14, v89
	v_fma_f16 v93, v94, s10, -v93
	v_fma_f16 v89, v94, s11, -v89
	v_mul_f16_e32 v94, 0xb846, v95
	v_mul_f16_e32 v95, 0x3b00, v88
	v_fma_f16 v88, v88, s7, -v94
	v_fma_f16 v94, v90, s13, v94
	v_fma_f16 v90, v90, s12, -v95
	v_add_f16_e32 v95, v137, v92
	v_fma_f16 v92, v92, s5, v95
	v_add_f16_e32 v78, v78, v118
	v_add_f16_e32 v80, v80, v116
	;; [unrolled: 1-line block ×5, first 2 shown]
	v_fma_f16 v92, v87, s4, v94
	v_fma_f16 v88, v87, s4, v88
	;; [unrolled: 1-line block ×3, first 2 shown]
	v_sub_f16_e32 v77, v77, v115
	v_add_f16_e32 v81, v81, v83
	v_sub_f16_e32 v79, v82, v79
	v_add_f16_e32 v82, v80, v78
	v_add_f16_e32 v90, v88, v93
	v_sub_f16_e32 v88, v93, v88
	v_sub_f16_e32 v93, v89, v87
	v_add_f16_e32 v87, v87, v89
	v_sub_f16_e32 v76, v76, v117
	v_sub_f16_e32 v83, v80, v78
	;; [unrolled: 1-line block ×4, first 2 shown]
	v_add_f16_e32 v81, v81, v82
	v_add_f16_e32 v82, v79, v77
	v_sub_f16_e32 v89, v91, v92
	v_add_f16_e32 v91, v92, v91
	ds_write_b16 v125, v95
	ds_write_b16 v125, v89 offset:14
	ds_write_b16 v125, v93 offset:28
	;; [unrolled: 1-line block ×6, first 2 shown]
	v_sub_f16_e32 v87, v79, v77
	v_sub_f16_e32 v79, v76, v79
	;; [unrolled: 1-line block ×3, first 2 shown]
	v_add_f16_e32 v76, v82, v76
	v_mul_f16_e32 v78, 0x3a52, v78
	v_mul_f16_e32 v82, 0x2b26, v80
	v_fma_f16 v80, v80, s14, v78
	v_fma_f16 v82, v83, s10, -v82
	v_fma_f16 v78, v83, s11, -v78
	v_mul_f16_e32 v83, 0xb846, v87
	v_mul_f16_e32 v87, 0x3b00, v77
	v_fma_f16 v77, v77, s7, -v83
	v_fma_f16 v83, v79, s13, v83
	v_fma_f16 v79, v79, s12, -v87
	v_add_f16_e32 v87, v126, v81
	v_add_f16_e32 v2, v2, v86
	;; [unrolled: 1-line block ×3, first 2 shown]
	v_fma_f16 v81, v81, s5, v87
	v_add_f16_e32 v69, v69, v106
	v_add_f16_e32 v72, v72, v98
	v_sub_f16_e32 v1, v1, v12
	v_add_f16_e32 v5, v5, v66
	v_sub_f16_e32 v3, v65, v3
	v_add_f16_e32 v12, v4, v2
	v_add_f16_e32 v80, v80, v81
	;; [unrolled: 1-line block ×4, first 2 shown]
	v_fma_f16 v81, v76, s4, v83
	v_fma_f16 v77, v76, s4, v77
	;; [unrolled: 1-line block ×3, first 2 shown]
	v_sub_f16_e32 v68, v68, v96
	v_add_f16_e32 v73, v73, v75
	v_sub_f16_e32 v70, v74, v70
	v_add_f16_e32 v74, v72, v69
	v_sub_f16_e32 v0, v0, v85
	v_sub_f16_e32 v65, v4, v2
	;; [unrolled: 1-line block ×4, first 2 shown]
	v_add_f16_e32 v5, v5, v12
	v_add_f16_e32 v12, v3, v1
	v_add_f16_e32 v79, v77, v82
	v_sub_f16_e32 v77, v82, v77
	v_sub_f16_e32 v82, v78, v76
	v_add_f16_e32 v76, v76, v78
	v_sub_f16_e32 v67, v67, v101
	v_sub_f16_e32 v75, v72, v69
	;; [unrolled: 1-line block ×4, first 2 shown]
	v_add_f16_e32 v73, v73, v74
	v_add_f16_e32 v74, v70, v68
	v_sub_f16_e32 v66, v3, v1
	v_sub_f16_e32 v3, v0, v3
	;; [unrolled: 1-line block ×3, first 2 shown]
	v_add_f16_e32 v0, v12, v0
	v_mul_f16_e32 v2, 0x3a52, v2
	v_mul_f16_e32 v12, 0x2b26, v4
	v_sub_f16_e32 v78, v80, v81
	v_add_f16_e32 v80, v81, v80
	ds_write_b16 v127, v87
	ds_write_b16 v127, v78 offset:14
	ds_write_b16 v127, v82 offset:28
	;; [unrolled: 1-line block ×6, first 2 shown]
	v_sub_f16_e32 v76, v70, v68
	v_sub_f16_e32 v70, v67, v70
	v_sub_f16_e32 v68, v68, v67
	v_add_f16_e32 v67, v74, v67
	v_mul_f16_e32 v69, 0x3a52, v69
	v_mul_f16_e32 v74, 0x2b26, v72
	v_fma_f16 v4, v4, s14, v2
	v_fma_f16 v12, v65, s10, -v12
	v_fma_f16 v2, v65, s11, -v2
	v_mul_f16_e32 v65, 0xb846, v66
	v_mul_f16_e32 v66, 0x3b00, v1
	v_fma_f16 v72, v72, s14, v69
	v_fma_f16 v74, v75, s10, -v74
	v_fma_f16 v69, v75, s11, -v69
	v_mul_f16_e32 v75, 0xb846, v76
	v_mul_f16_e32 v76, 0x3b00, v68
	v_fma_f16 v1, v1, s7, -v65
	v_fma_f16 v65, v3, s13, v65
	v_fma_f16 v3, v3, s12, -v66
	v_add_f16_e32 v66, v71, v5
	v_fma_f16 v68, v68, s7, -v75
	v_fma_f16 v75, v70, s13, v75
	v_fma_f16 v70, v70, s12, -v76
	v_add_f16_e32 v76, v119, v73
	v_fma_f16 v5, v5, s5, v66
	v_fma_f16 v73, v73, s5, v76
	v_add_f16_e32 v4, v4, v5
	v_add_f16_e32 v12, v12, v5
	;; [unrolled: 1-line block ×3, first 2 shown]
	v_fma_f16 v5, v0, s4, v65
	v_fma_f16 v1, v0, s4, v1
	;; [unrolled: 1-line block ×3, first 2 shown]
	v_add_f16_e32 v72, v72, v73
	v_add_f16_e32 v74, v74, v73
	v_add_f16_e32 v69, v69, v73
	v_fma_f16 v73, v67, s4, v75
	v_fma_f16 v68, v67, s4, v68
	;; [unrolled: 1-line block ×3, first 2 shown]
	v_add_f16_e32 v3, v1, v12
	v_sub_f16_e32 v1, v12, v1
	v_sub_f16_e32 v12, v2, v0
	v_add_f16_e32 v0, v0, v2
	v_add_f16_e32 v70, v68, v74
	v_sub_f16_e32 v68, v74, v68
	v_sub_f16_e32 v74, v69, v67
	v_add_f16_e32 v67, v67, v69
	v_sub_f16_e32 v69, v72, v73
	v_add_f16_e32 v72, v73, v72
	ds_write_b16 v128, v76
	ds_write_b16 v128, v69 offset:14
	ds_write_b16 v128, v74 offset:28
	;; [unrolled: 1-line block ×6, first 2 shown]
	v_sub_f16_e32 v2, v4, v5
	v_add_f16_e32 v4, v5, v4
	ds_write_b16 v131, v66
	ds_write_b16 v131, v2 offset:14
	ds_write_b16 v131, v12 offset:28
	;; [unrolled: 1-line block ×6, first 2 shown]
	v_mul_u32_u24_e32 v0, 6, v8
	v_lshlrev_b32_e32 v12, 2, v0
	s_waitcnt lgkmcnt(0)
	; wave barrier
	s_waitcnt lgkmcnt(0)
	global_load_dwordx4 v[0:3], v12, s[8:9] offset:168
	global_load_dwordx2 v[4:5], v12, s[8:9] offset:184
	ds_read_u16 v65, v9 offset:686
	ds_read_u16 v96, v9 offset:1274
	;; [unrolled: 1-line block ×3, first 2 shown]
	s_waitcnt vmcnt(1) lgkmcnt(2)
	v_mul_f16_sdwa v66, v65, v0 dst_sel:DWORD dst_unused:UNUSED_PAD src0_sel:DWORD src1_sel:WORD_1
	v_fma_f16 v68, v64, v0, -v66
	v_mul_f16_sdwa v64, v64, v0 dst_sel:DWORD dst_unused:UNUSED_PAD src0_sel:DWORD src1_sel:WORD_1
	v_fma_f16 v69, v65, v0, v64
	v_mul_lo_u16_sdwa v64, v17, s15 dst_sel:DWORD dst_unused:UNUSED_PAD src0_sel:BYTE_0 src1_sel:DWORD
	v_sub_u16_sdwa v65, v17, v64 dst_sel:DWORD dst_unused:UNUSED_PAD src0_sel:DWORD src1_sel:BYTE_1
	v_lshrrev_b16_e32 v65, 1, v65
	v_and_b32_e32 v65, 0x7f, v65
	v_add_u16_sdwa v64, v65, v64 dst_sel:DWORD dst_unused:UNUSED_PAD src0_sel:DWORD src1_sel:BYTE_1
	v_lshrrev_b16_e32 v64, 5, v64
	v_mul_lo_u16_e32 v64, 49, v64
	ds_read_u16 v66, v9 offset:1470
	v_sub_u16_e32 v17, v17, v64
	ds_read_u16 v64, v9 offset:1372
	v_and_b32_e32 v17, 0xff, v17
	v_mul_u32_u24_e32 v65, 6, v17
	v_lshlrev_b32_e32 v92, 2, v65
	global_load_dwordx4 v[80:83], v92, s[8:9] offset:168
	s_waitcnt lgkmcnt(0)
	v_mul_f16_sdwa v65, v64, v1 dst_sel:DWORD dst_unused:UNUSED_PAD src0_sel:DWORD src1_sel:WORD_1
	v_fma_f16 v70, v63, v1, -v65
	ds_read_u16 v65, v9 offset:2058
	v_mul_f16_sdwa v63, v63, v1 dst_sel:DWORD dst_unused:UNUSED_PAD src0_sel:DWORD src1_sel:WORD_1
	v_fma_f16 v71, v64, v1, v63
	ds_read_u16 v79, v9 offset:2156
	ds_read_u16 v97, v9 offset:2254
	;; [unrolled: 1-line block ×8, first 2 shown]
	s_waitcnt lgkmcnt(8)
	v_mul_f16_sdwa v63, v65, v2 dst_sel:DWORD dst_unused:UNUSED_PAD src0_sel:DWORD src1_sel:WORD_1
	v_fma_f16 v72, v62, v2, -v63
	v_mul_f16_sdwa v62, v62, v2 dst_sel:DWORD dst_unused:UNUSED_PAD src0_sel:DWORD src1_sel:WORD_1
	v_fma_f16 v73, v65, v2, v62
	v_mul_lo_u16_sdwa v62, v18, s15 dst_sel:DWORD dst_unused:UNUSED_PAD src0_sel:BYTE_0 src1_sel:DWORD
	v_sub_u16_sdwa v63, v18, v62 dst_sel:DWORD dst_unused:UNUSED_PAD src0_sel:DWORD src1_sel:BYTE_1
	v_lshrrev_b16_e32 v63, 1, v63
	v_and_b32_e32 v63, 0x7f, v63
	v_add_u16_sdwa v62, v63, v62 dst_sel:DWORD dst_unused:UNUSED_PAD src0_sel:DWORD src1_sel:BYTE_1
	v_lshrrev_b16_e32 v62, 5, v62
	s_waitcnt lgkmcnt(4)
	v_mul_f16_sdwa v75, v74, v3 dst_sel:DWORD dst_unused:UNUSED_PAD src0_sel:DWORD src1_sel:WORD_1
	v_mul_lo_u16_e32 v62, 49, v62
	v_sub_u16_e32 v18, v18, v62
	v_fma_f16 v77, v61, v3, -v75
	v_mul_f16_sdwa v61, v61, v3 dst_sel:DWORD dst_unused:UNUSED_PAD src0_sel:DWORD src1_sel:WORD_1
	v_and_b32_e32 v18, 0xff, v18
	v_fma_f16 v78, v74, v3, v61
	v_mul_lo_u16_sdwa v61, v16, s15 dst_sel:DWORD dst_unused:UNUSED_PAD src0_sel:BYTE_0 src1_sel:DWORD
	v_mul_u32_u24_e32 v62, 6, v18
	v_sub_u16_sdwa v74, v16, v61 dst_sel:DWORD dst_unused:UNUSED_PAD src0_sel:DWORD src1_sel:BYTE_1
	v_lshlrev_b32_e32 v100, 2, v62
	v_lshrrev_b16_e32 v74, 1, v74
	global_load_dwordx4 v[62:65], v100, s[8:9] offset:168
	v_and_b32_e32 v74, 0x7f, v74
	v_add_u16_sdwa v61, v74, v61 dst_sel:DWORD dst_unused:UNUSED_PAD src0_sel:DWORD src1_sel:BYTE_1
	v_lshrrev_b16_e32 v61, 5, v61
	v_mul_lo_u16_e32 v61, 49, v61
	v_sub_u16_e32 v61, v16, v61
	v_and_b32_e32 v61, 0xff, v61
	ds_read_u16 v75, v9 offset:784
	ds_read_u16 v101, v9 offset:882
	;; [unrolled: 1-line block ×5, first 2 shown]
	v_mul_u32_u24_e32 v74, 6, v61
	v_lshlrev_b32_e32 v105, 2, v74
	s_waitcnt lgkmcnt(4)
	v_mul_f16_sdwa v74, v75, v0 dst_sel:DWORD dst_unused:UNUSED_PAD src0_sel:DWORD src1_sel:WORD_1
	v_fma_f16 v74, v57, v0, -v74
	v_mul_f16_sdwa v57, v57, v0 dst_sel:DWORD dst_unused:UNUSED_PAD src0_sel:DWORD src1_sel:WORD_1
	v_fma_f16 v75, v75, v0, v57
	v_mul_f16_sdwa v0, v66, v1 dst_sel:DWORD dst_unused:UNUSED_PAD src0_sel:DWORD src1_sel:WORD_1
	v_mul_f16_sdwa v57, v60, v1 dst_sel:DWORD dst_unused:UNUSED_PAD src0_sel:DWORD src1_sel:WORD_1
	v_fma_f16 v0, v60, v1, -v0
	v_fma_f16 v76, v66, v1, v57
	v_mul_f16_sdwa v1, v79, v2 dst_sel:DWORD dst_unused:UNUSED_PAD src0_sel:DWORD src1_sel:WORD_1
	v_mul_f16_sdwa v57, v59, v2 dst_sel:DWORD dst_unused:UNUSED_PAD src0_sel:DWORD src1_sel:WORD_1
	s_movk_i32 s15, 0x4e5f
	v_fma_f16 v1, v59, v2, -v1
	v_fma_f16 v2, v79, v2, v57
	v_mul_u32_u24_sdwa v57, v15, s15 dst_sel:DWORD dst_unused:UNUSED_PAD src0_sel:WORD_0 src1_sel:DWORD
	global_load_dwordx4 v[84:87], v105, s[8:9] offset:168
	v_sub_u16_sdwa v60, v15, v57 dst_sel:DWORD dst_unused:UNUSED_PAD src0_sel:DWORD src1_sel:WORD_1
	v_lshrrev_b16_e32 v60, 1, v60
	v_add_u16_sdwa v57, v60, v57 dst_sel:DWORD dst_unused:UNUSED_PAD src0_sel:DWORD src1_sel:WORD_1
	v_lshrrev_b16_e32 v57, 5, v57
	v_mul_lo_u16_e32 v57, 49, v57
	v_sub_u16_e32 v57, v15, v57
	v_mul_u32_u24_e32 v60, 6, v57
	v_lshlrev_b32_e32 v66, 2, v60
	global_load_dwordx4 v[88:91], v66, s[8:9] offset:168
	v_mul_f16_sdwa v59, v93, v3 dst_sel:DWORD dst_unused:UNUSED_PAD src0_sel:DWORD src1_sel:WORD_1
	v_fma_f16 v79, v58, v3, -v59
	global_load_dwordx2 v[59:60], v92, s[8:9] offset:184
	v_mul_f16_sdwa v58, v58, v3 dst_sel:DWORD dst_unused:UNUSED_PAD src0_sel:DWORD src1_sel:WORD_1
	v_fma_f16 v3, v93, v3, v58
	ds_read_u16 v106, v9 offset:1568
	v_lshl_add_u32 v150, v61, 1, 0
	s_waitcnt vmcnt(4) lgkmcnt(4)
	v_mul_f16_sdwa v58, v101, v80 dst_sel:DWORD dst_unused:UNUSED_PAD src0_sel:DWORD src1_sel:WORD_1
	v_fma_f16 v128, v56, v80, -v58
	v_mul_f16_sdwa v58, v56, v80 dst_sel:DWORD dst_unused:UNUSED_PAD src0_sel:DWORD src1_sel:WORD_1
	v_mul_u32_u24_sdwa v56, v14, s15 dst_sel:DWORD dst_unused:UNUSED_PAD src0_sel:WORD_0 src1_sel:DWORD
	v_sub_u16_sdwa v92, v14, v56 dst_sel:DWORD dst_unused:UNUSED_PAD src0_sel:DWORD src1_sel:WORD_1
	v_lshrrev_b16_e32 v92, 1, v92
	v_add_u16_sdwa v56, v92, v56 dst_sel:DWORD dst_unused:UNUSED_PAD src0_sel:DWORD src1_sel:WORD_1
	v_lshrrev_b16_e32 v56, 5, v56
	v_mul_lo_u16_e32 v56, 49, v56
	v_sub_u16_e32 v56, v14, v56
	v_mul_u32_u24_e32 v92, 6, v56
	v_lshlrev_b32_e32 v123, 2, v92
	global_load_dwordx4 v[92:95], v123, s[8:9] offset:168
	s_waitcnt lgkmcnt(0)
	v_mul_f16_sdwa v107, v106, v81 dst_sel:DWORD dst_unused:UNUSED_PAD src0_sel:DWORD src1_sel:WORD_1
	v_fma_f16 v135, v55, v81, -v107
	v_mul_f16_sdwa v55, v55, v81 dst_sel:DWORD dst_unused:UNUSED_PAD src0_sel:DWORD src1_sel:WORD_1
	v_fma_f16 v134, v101, v80, v58
	ds_read_u16 v58, v9 offset:1666
	ds_read_u16 v80, v9 offset:1764
	;; [unrolled: 1-line block ×3, first 2 shown]
	v_fma_f16 v55, v106, v81, v55
	v_mul_f16_sdwa v81, v97, v82 dst_sel:DWORD dst_unused:UNUSED_PAD src0_sel:DWORD src1_sel:WORD_1
	v_fma_f16 v136, v48, v82, -v81
	v_mul_f16_sdwa v48, v48, v82 dst_sel:DWORD dst_unused:UNUSED_PAD src0_sel:DWORD src1_sel:WORD_1
	v_fma_f16 v137, v97, v82, v48
	v_mul_f16_sdwa v48, v98, v83 dst_sel:DWORD dst_unused:UNUSED_PAD src0_sel:DWORD src1_sel:WORD_1
	v_fma_f16 v138, v47, v83, -v48
	v_mul_f16_sdwa v47, v47, v83 dst_sel:DWORD dst_unused:UNUSED_PAD src0_sel:DWORD src1_sel:WORD_1
	v_fma_f16 v139, v98, v83, v47
	global_load_dwordx2 v[47:48], v100, s[8:9] offset:184
	s_waitcnt vmcnt(5)
	v_mul_f16_sdwa v81, v102, v62 dst_sel:DWORD dst_unused:UNUSED_PAD src0_sel:DWORD src1_sel:WORD_1
	v_fma_f16 v113, v54, v62, -v81
	v_mul_f16_sdwa v54, v54, v62 dst_sel:DWORD dst_unused:UNUSED_PAD src0_sel:DWORD src1_sel:WORD_1
	v_fma_f16 v115, v102, v62, v54
	s_waitcnt lgkmcnt(2)
	v_mul_f16_sdwa v54, v58, v63 dst_sel:DWORD dst_unused:UNUSED_PAD src0_sel:DWORD src1_sel:WORD_1
	v_fma_f16 v114, v53, v63, -v54
	ds_read_u16 v54, v9 offset:2352
	v_mul_f16_sdwa v53, v53, v63 dst_sel:DWORD dst_unused:UNUSED_PAD src0_sel:DWORD src1_sel:WORD_1
	v_fma_f16 v116, v58, v63, v53
	ds_read_u16 v58, v9 offset:2450
	ds_read_u16 v62, v9 offset:2548
	s_waitcnt lgkmcnt(2)
	v_mul_f16_sdwa v53, v54, v64 dst_sel:DWORD dst_unused:UNUSED_PAD src0_sel:DWORD src1_sel:WORD_1
	v_fma_f16 v117, v52, v64, -v53
	v_mul_f16_sdwa v52, v52, v64 dst_sel:DWORD dst_unused:UNUSED_PAD src0_sel:DWORD src1_sel:WORD_1
	v_fma_f16 v118, v54, v64, v52
	v_mul_f16_sdwa v52, v99, v65 dst_sel:DWORD dst_unused:UNUSED_PAD src0_sel:DWORD src1_sel:WORD_1
	v_fma_f16 v119, v45, v65, -v52
	v_mul_f16_sdwa v45, v45, v65 dst_sel:DWORD dst_unused:UNUSED_PAD src0_sel:DWORD src1_sel:WORD_1
	v_fma_f16 v120, v99, v65, v45
	global_load_dwordx2 v[52:53], v105, s[8:9] offset:184
	s_waitcnt vmcnt(5)
	v_mul_f16_sdwa v45, v103, v84 dst_sel:DWORD dst_unused:UNUSED_PAD src0_sel:DWORD src1_sel:WORD_1
	v_fma_f16 v105, v50, v84, -v45
	v_mul_f16_sdwa v45, v50, v84 dst_sel:DWORD dst_unused:UNUSED_PAD src0_sel:DWORD src1_sel:WORD_1
	v_fma_f16 v107, v103, v84, v45
	v_mul_f16_sdwa v45, v80, v85 dst_sel:DWORD dst_unused:UNUSED_PAD src0_sel:DWORD src1_sel:WORD_1
	v_fma_f16 v106, v51, v85, -v45
	v_mul_f16_sdwa v45, v51, v85 dst_sel:DWORD dst_unused:UNUSED_PAD src0_sel:DWORD src1_sel:WORD_1
	v_fma_f16 v109, v80, v85, v45
	s_waitcnt lgkmcnt(1)
	v_mul_f16_sdwa v45, v58, v86 dst_sel:DWORD dst_unused:UNUSED_PAD src0_sel:DWORD src1_sel:WORD_1
	v_fma_f16 v108, v49, v86, -v45
	v_mul_f16_sdwa v45, v49, v86 dst_sel:DWORD dst_unused:UNUSED_PAD src0_sel:DWORD src1_sel:WORD_1
	v_fma_f16 v110, v58, v86, v45
	ds_read_u16 v49, v9 offset:3626
	ds_read_u16 v50, v9 offset:3724
	;; [unrolled: 1-line block ×8, first 2 shown]
	s_waitcnt lgkmcnt(4)
	v_mul_f16_sdwa v58, v45, v87 dst_sel:DWORD dst_unused:UNUSED_PAD src0_sel:DWORD src1_sel:WORD_1
	v_fma_f16 v111, v46, v87, -v58
	s_waitcnt vmcnt(4)
	v_mul_f16_sdwa v58, v104, v88 dst_sel:DWORD dst_unused:UNUSED_PAD src0_sel:DWORD src1_sel:WORD_1
	v_fma_f16 v97, v39, v88, -v58
	v_mul_f16_sdwa v39, v39, v88 dst_sel:DWORD dst_unused:UNUSED_PAD src0_sel:DWORD src1_sel:WORD_1
	v_mul_f16_sdwa v46, v46, v87 dst_sel:DWORD dst_unused:UNUSED_PAD src0_sel:DWORD src1_sel:WORD_1
	v_fma_f16 v99, v104, v88, v39
	v_mul_f16_sdwa v39, v101, v89 dst_sel:DWORD dst_unused:UNUSED_PAD src0_sel:DWORD src1_sel:WORD_1
	v_fma_f16 v112, v45, v87, v46
	global_load_dwordx2 v[45:46], v66, s[8:9] offset:184
	v_fma_f16 v98, v40, v89, -v39
	v_mul_f16_sdwa v39, v40, v89 dst_sel:DWORD dst_unused:UNUSED_PAD src0_sel:DWORD src1_sel:WORD_1
	v_fma_f16 v101, v101, v89, v39
	v_mul_f16_sdwa v39, v62, v90 dst_sel:DWORD dst_unused:UNUSED_PAD src0_sel:DWORD src1_sel:WORD_1
	v_fma_f16 v100, v38, v90, -v39
	global_load_dwordx2 v[39:40], v123, s[8:9] offset:184
	v_mul_f16_sdwa v38, v38, v90 dst_sel:DWORD dst_unused:UNUSED_PAD src0_sel:DWORD src1_sel:WORD_1
	v_fma_f16 v102, v62, v90, v38
	s_waitcnt lgkmcnt(3)
	v_mul_f16_sdwa v38, v54, v91 dst_sel:DWORD dst_unused:UNUSED_PAD src0_sel:DWORD src1_sel:WORD_1
	v_fma_f16 v103, v37, v91, -v38
	v_mul_f16_sdwa v37, v37, v91 dst_sel:DWORD dst_unused:UNUSED_PAD src0_sel:DWORD src1_sel:WORD_1
	v_fma_f16 v104, v54, v91, v37
	s_waitcnt vmcnt(4)
	v_mul_f16_sdwa v37, v96, v92 dst_sel:DWORD dst_unused:UNUSED_PAD src0_sel:DWORD src1_sel:WORD_1
	v_fma_f16 v58, v44, v92, -v37
	v_mul_f16_sdwa v37, v44, v92 dst_sel:DWORD dst_unused:UNUSED_PAD src0_sel:DWORD src1_sel:WORD_1
	v_fma_f16 v81, v96, v92, v37
	v_mul_f16_sdwa v37, v121, v93 dst_sel:DWORD dst_unused:UNUSED_PAD src0_sel:DWORD src1_sel:WORD_1
	v_fma_f16 v80, v43, v93, -v37
	v_mul_f16_sdwa v37, v43, v93 dst_sel:DWORD dst_unused:UNUSED_PAD src0_sel:DWORD src1_sel:WORD_1
	v_fma_f16 v83, v121, v93, v37
	v_mul_f16_sdwa v37, v122, v94 dst_sel:DWORD dst_unused:UNUSED_PAD src0_sel:DWORD src1_sel:WORD_1
	v_fma_f16 v82, v42, v94, -v37
	v_mul_f16_sdwa v37, v42, v94 dst_sel:DWORD dst_unused:UNUSED_PAD src0_sel:DWORD src1_sel:WORD_1
	v_fma_f16 v84, v122, v94, v37
	s_waitcnt lgkmcnt(2)
	v_mul_f16_sdwa v37, v63, v95 dst_sel:DWORD dst_unused:UNUSED_PAD src0_sel:DWORD src1_sel:WORD_1
	v_fma_f16 v85, v41, v95, -v37
	v_mul_f16_sdwa v37, v41, v95 dst_sel:DWORD dst_unused:UNUSED_PAD src0_sel:DWORD src1_sel:WORD_1
	v_fma_f16 v86, v63, v95, v37
	s_waitcnt lgkmcnt(0)
	v_mul_f16_sdwa v37, v65, v4 dst_sel:DWORD dst_unused:UNUSED_PAD src0_sel:DWORD src1_sel:WORD_1
	v_fma_f16 v93, v36, v4, -v37
	v_mul_f16_sdwa v36, v36, v4 dst_sel:DWORD dst_unused:UNUSED_PAD src0_sel:DWORD src1_sel:WORD_1
	v_fma_f16 v94, v65, v4, v36
	ds_read_u16 v36, v9 offset:4116
	ds_read_u16 v37, v9 offset:4214
	;; [unrolled: 1-line block ×7, first 2 shown]
	s_waitcnt lgkmcnt(6)
	v_mul_f16_sdwa v54, v36, v5 dst_sel:DWORD dst_unused:UNUSED_PAD src0_sel:DWORD src1_sel:WORD_1
	v_fma_f16 v95, v35, v5, -v54
	v_mul_f16_sdwa v35, v35, v5 dst_sel:DWORD dst_unused:UNUSED_PAD src0_sel:DWORD src1_sel:WORD_1
	v_fma_f16 v96, v36, v5, v35
	v_mul_f16_sdwa v35, v64, v4 dst_sel:DWORD dst_unused:UNUSED_PAD src0_sel:DWORD src1_sel:WORD_1
	v_fma_f16 v87, v34, v4, -v35
	v_mul_f16_sdwa v34, v34, v4 dst_sel:DWORD dst_unused:UNUSED_PAD src0_sel:DWORD src1_sel:WORD_1
	v_fma_f16 v88, v64, v4, v34
	s_waitcnt lgkmcnt(5)
	v_mul_f16_sdwa v4, v37, v5 dst_sel:DWORD dst_unused:UNUSED_PAD src0_sel:DWORD src1_sel:WORD_1
	v_fma_f16 v89, v33, v5, -v4
	v_mul_f16_sdwa v4, v33, v5 dst_sel:DWORD dst_unused:UNUSED_PAD src0_sel:DWORD src1_sel:WORD_1
	v_fma_f16 v91, v37, v5, v4
	v_mul_f16_sdwa v4, v49, v59 dst_sel:DWORD dst_unused:UNUSED_PAD src0_sel:DWORD src1_sel:WORD_1
	v_fma_f16 v33, v25, v59, -v4
	v_mul_f16_sdwa v4, v25, v59 dst_sel:DWORD dst_unused:UNUSED_PAD src0_sel:DWORD src1_sel:WORD_1
	v_fma_f16 v25, v49, v59, v4
	s_waitcnt lgkmcnt(4)
	v_mul_f16_sdwa v4, v38, v60 dst_sel:DWORD dst_unused:UNUSED_PAD src0_sel:DWORD src1_sel:WORD_1
	v_fma_f16 v34, v32, v60, -v4
	v_mul_f16_sdwa v4, v32, v60 dst_sel:DWORD dst_unused:UNUSED_PAD src0_sel:DWORD src1_sel:WORD_1
	v_fma_f16 v32, v38, v60, v4
	s_waitcnt vmcnt(3)
	v_mul_f16_sdwa v4, v50, v47 dst_sel:DWORD dst_unused:UNUSED_PAD src0_sel:DWORD src1_sel:WORD_1
	v_fma_f16 v130, v24, v47, -v4
	v_mul_f16_sdwa v4, v24, v47 dst_sel:DWORD dst_unused:UNUSED_PAD src0_sel:DWORD src1_sel:WORD_1
	v_fma_f16 v131, v50, v47, v4
	s_waitcnt lgkmcnt(3)
	v_mul_f16_sdwa v4, v41, v48 dst_sel:DWORD dst_unused:UNUSED_PAD src0_sel:DWORD src1_sel:WORD_1
	v_fma_f16 v132, v31, v48, -v4
	v_mul_f16_sdwa v4, v31, v48 dst_sel:DWORD dst_unused:UNUSED_PAD src0_sel:DWORD src1_sel:WORD_1
	v_fma_f16 v133, v41, v48, v4
	s_waitcnt vmcnt(2)
	v_mul_f16_sdwa v4, v51, v52 dst_sel:DWORD dst_unused:UNUSED_PAD src0_sel:DWORD src1_sel:WORD_1
	v_fma_f16 v125, v23, v52, -v4
	v_mul_f16_sdwa v4, v23, v52 dst_sel:DWORD dst_unused:UNUSED_PAD src0_sel:DWORD src1_sel:WORD_1
	v_fma_f16 v126, v51, v52, v4
	ds_read_u16 v4, v9 offset:3920
	ds_read_u16 v23, v9 offset:4704
	s_waitcnt lgkmcnt(4)
	v_mul_f16_sdwa v5, v42, v53 dst_sel:DWORD dst_unused:UNUSED_PAD src0_sel:DWORD src1_sel:WORD_1
	v_fma_f16 v127, v28, v53, -v5
	v_mul_f16_sdwa v5, v28, v53 dst_sel:DWORD dst_unused:UNUSED_PAD src0_sel:DWORD src1_sel:WORD_1
	v_fma_f16 v129, v42, v53, v5
	v_sub_f16_e32 v38, v76, v88
	v_add_f16_e32 v42, v55, v25
	v_sub_f16_e32 v25, v55, v25
	v_sub_f16_e32 v52, v109, v126
	;; [unrolled: 1-line block ×3, first 2 shown]
	s_waitcnt vmcnt(1) lgkmcnt(1)
	v_mul_f16_sdwa v5, v4, v45 dst_sel:DWORD dst_unused:UNUSED_PAD src0_sel:DWORD src1_sel:WORD_1
	v_fma_f16 v121, v26, v45, -v5
	v_mul_f16_sdwa v5, v26, v45 dst_sel:DWORD dst_unused:UNUSED_PAD src0_sel:DWORD src1_sel:WORD_1
	v_fma_f16 v122, v4, v45, v5
	v_mul_f16_sdwa v4, v43, v46 dst_sel:DWORD dst_unused:UNUSED_PAD src0_sel:DWORD src1_sel:WORD_1
	v_fma_f16 v123, v27, v46, -v4
	s_waitcnt vmcnt(0) lgkmcnt(0)
	v_mul_f16_sdwa v24, v23, v40 dst_sel:DWORD dst_unused:UNUSED_PAD src0_sel:DWORD src1_sel:WORD_1
	v_mul_f16_sdwa v4, v27, v46 dst_sel:DWORD dst_unused:UNUSED_PAD src0_sel:DWORD src1_sel:WORD_1
	v_fma_f16 v90, v29, v40, -v24
	v_mul_f16_sdwa v24, v29, v40 dst_sel:DWORD dst_unused:UNUSED_PAD src0_sel:DWORD src1_sel:WORD_1
	v_fma_f16 v124, v43, v46, v4
	v_mul_f16_sdwa v4, v44, v39 dst_sel:DWORD dst_unused:UNUSED_PAD src0_sel:DWORD src1_sel:WORD_1
	v_fma_f16 v92, v23, v40, v24
	v_add_f16_e32 v23, v68, v95
	v_add_f16_e32 v24, v70, v93
	v_fma_f16 v4, v30, v39, -v4
	v_mul_f16_sdwa v5, v30, v39 dst_sel:DWORD dst_unused:UNUSED_PAD src0_sel:DWORD src1_sel:WORD_1
	v_add_f16_e32 v26, v72, v77
	v_add_f16_e32 v27, v24, v23
	v_sub_f16_e32 v29, v71, v94
	v_sub_f16_e32 v30, v78, v73
	;; [unrolled: 1-line block ×5, first 2 shown]
	v_add_f16_e32 v26, v26, v27
	v_sub_f16_e32 v27, v69, v96
	v_add_f16_e32 v31, v30, v29
	v_sub_f16_e32 v35, v30, v29
	v_sub_f16_e32 v30, v27, v30
	;; [unrolled: 1-line block ×3, first 2 shown]
	v_add_f16_e32 v27, v31, v27
	v_mul_f16_e32 v23, 0x3a52, v23
	v_mul_f16_e32 v31, 0x2b26, v24
	v_fma_f16 v24, v24, s14, v23
	v_fma_f16 v31, v28, s10, -v31
	v_fma_f16 v23, v28, s11, -v23
	v_mul_f16_e32 v28, 0xb846, v35
	v_mul_f16_e32 v35, 0x3b00, v29
	v_add_f16_e32 v22, v22, v26
	v_fma_f16 v29, v29, s7, -v28
	v_fma_f16 v28, v30, s13, v28
	v_fma_f16 v30, v30, s12, -v35
	v_fma_f16 v26, v26, s5, v22
	v_add_f16_e32 v24, v24, v26
	v_add_f16_e32 v31, v31, v26
	;; [unrolled: 1-line block ×3, first 2 shown]
	v_fma_f16 v26, v27, s4, v28
	v_fma_f16 v28, v27, s4, v29
	;; [unrolled: 1-line block ×3, first 2 shown]
	v_sub_f16_e32 v29, v31, v28
	v_add_f16_e32 v28, v28, v31
	v_add_f16_e32 v30, v27, v23
	v_sub_f16_e32 v23, v23, v27
	v_add_f16_e32 v27, v26, v24
	v_sub_f16_e32 v24, v24, v26
	v_add_f16_e32 v26, v74, v89
	v_add_f16_e32 v31, v0, v87
	v_fma_f16 v5, v44, v39, v5
	v_add_f16_e32 v35, v1, v79
	v_add_f16_e32 v36, v31, v26
	v_sub_f16_e32 v39, v3, v2
	v_sub_f16_e32 v37, v31, v26
	;; [unrolled: 1-line block ×4, first 2 shown]
	v_add_f16_e32 v35, v35, v36
	v_sub_f16_e32 v36, v75, v91
	v_add_f16_e32 v40, v39, v38
	v_sub_f16_e32 v41, v39, v38
	v_sub_f16_e32 v39, v36, v39
	;; [unrolled: 1-line block ×3, first 2 shown]
	v_add_f16_e32 v36, v40, v36
	v_mul_f16_e32 v26, 0x3a52, v26
	v_mul_f16_e32 v40, 0x2b26, v31
	v_fma_f16 v31, v31, s14, v26
	v_fma_f16 v40, v37, s10, -v40
	v_fma_f16 v26, v37, s11, -v26
	v_mul_f16_e32 v37, 0xb846, v41
	v_mul_f16_e32 v41, 0x3b00, v38
	v_add_f16_e32 v21, v21, v35
	v_fma_f16 v38, v38, s7, -v37
	v_fma_f16 v37, v39, s13, v37
	v_fma_f16 v39, v39, s12, -v41
	v_fma_f16 v35, v35, s5, v21
	v_add_f16_e32 v31, v31, v35
	v_add_f16_e32 v40, v40, v35
	;; [unrolled: 1-line block ×3, first 2 shown]
	v_fma_f16 v35, v36, s4, v37
	v_fma_f16 v37, v36, s4, v38
	;; [unrolled: 1-line block ×3, first 2 shown]
	v_add_f16_e32 v39, v36, v26
	v_sub_f16_e32 v26, v26, v36
	v_add_f16_e32 v36, v35, v31
	v_sub_f16_e32 v31, v31, v35
	v_add_f16_e32 v35, v128, v34
	v_add_f16_e32 v41, v135, v33
	v_sub_f16_e32 v38, v40, v37
	v_add_f16_e32 v37, v37, v40
	v_add_f16_e32 v40, v134, v32
	;; [unrolled: 1-line block ×4, first 2 shown]
	v_sub_f16_e32 v33, v135, v33
	v_sub_f16_e32 v44, v138, v136
	v_add_f16_e32 v45, v137, v139
	v_sub_f16_e32 v48, v41, v35
	v_sub_f16_e32 v35, v35, v43
	v_sub_f16_e32 v41, v43, v41
	v_add_f16_e32 v43, v43, v47
	v_add_f16_e32 v47, v42, v40
	v_sub_f16_e32 v34, v128, v34
	v_sub_f16_e32 v46, v139, v137
	;; [unrolled: 1-line block ×5, first 2 shown]
	v_add_f16_e32 v45, v45, v47
	v_add_f16_e32 v47, v44, v33
	v_sub_f16_e32 v32, v134, v32
	v_sub_f16_e32 v50, v44, v33
	;; [unrolled: 1-line block ×4, first 2 shown]
	v_add_f16_e32 v34, v47, v34
	v_add_f16_e32 v47, v46, v25
	v_sub_f16_e32 v51, v46, v25
	v_sub_f16_e32 v46, v32, v46
	;; [unrolled: 1-line block ×3, first 2 shown]
	v_add_f16_e32 v32, v47, v32
	v_mul_f16_e32 v35, 0x3a52, v35
	v_mul_f16_e32 v47, 0x2b26, v41
	v_fma_f16 v41, v41, s14, v35
	v_fma_f16 v47, v48, s10, -v47
	v_fma_f16 v35, v48, s11, -v35
	v_mul_f16_e32 v40, 0x3a52, v40
	v_mul_f16_e32 v48, 0x2b26, v42
	v_add_f16_e32 v20, v20, v43
	v_fma_f16 v42, v42, s14, v40
	v_fma_f16 v48, v49, s10, -v48
	v_fma_f16 v40, v49, s11, -v40
	v_mul_f16_e32 v49, 0xb846, v50
	v_mul_f16_e32 v50, 0x3b00, v33
	v_fma_f16 v43, v43, s5, v20
	v_fma_f16 v33, v33, s7, -v49
	v_fma_f16 v49, v44, s13, v49
	v_fma_f16 v44, v44, s12, -v50
	v_mul_f16_e32 v50, 0xb846, v51
	v_mul_f16_e32 v51, 0x3b00, v25
	v_add_f16_e32 v41, v41, v43
	v_add_f16_e32 v47, v47, v43
	;; [unrolled: 1-line block ×3, first 2 shown]
	ds_read_u16 v43, v9 offset:196
	ds_read_u16 v135, v9 offset:294
	;; [unrolled: 1-line block ×4, first 2 shown]
	ds_read_u16 v134, v9
	ds_read_u16 v128, v9 offset:98
	s_waitcnt lgkmcnt(5)
	v_add_f16_e32 v138, v43, v45
	v_fma_f16 v25, v25, s7, -v50
	v_fma_f16 v50, v46, s13, v50
	v_fma_f16 v46, v46, s12, -v51
	v_fma_f16 v43, v45, s5, v138
	v_add_f16_e32 v42, v42, v43
	v_add_f16_e32 v45, v48, v43
	;; [unrolled: 1-line block ×3, first 2 shown]
	v_fma_f16 v43, v34, s4, v49
	v_fma_f16 v33, v34, s4, v33
	;; [unrolled: 1-line block ×6, first 2 shown]
	v_add_f16_e32 v139, v33, v45
	v_sub_f16_e32 v140, v45, v33
	v_add_f16_e32 v33, v32, v35
	v_sub_f16_e32 v32, v35, v32
	v_sub_f16_e32 v141, v40, v34
	v_add_f16_e32 v142, v34, v40
	v_add_f16_e32 v34, v44, v41
	v_sub_f16_e32 v35, v41, v44
	v_add_f16_e32 v40, v113, v132
	v_add_f16_e32 v41, v114, v130
	v_sub_f16_e32 v46, v47, v25
	v_add_f16_e32 v25, v25, v47
	v_sub_f16_e32 v143, v42, v43
	v_add_f16_e32 v144, v43, v42
	v_add_f16_e32 v42, v117, v119
	v_add_f16_e32 v43, v41, v40
	v_sub_f16_e32 v45, v116, v131
	v_sub_f16_e32 v47, v120, v118
	;; [unrolled: 1-line block ×5, first 2 shown]
	v_add_f16_e32 v42, v42, v43
	v_sub_f16_e32 v43, v115, v133
	v_add_f16_e32 v48, v47, v45
	v_sub_f16_e32 v49, v47, v45
	v_sub_f16_e32 v47, v43, v47
	;; [unrolled: 1-line block ×3, first 2 shown]
	v_add_f16_e32 v43, v48, v43
	v_mul_f16_e32 v40, 0x3a52, v40
	v_mul_f16_e32 v48, 0x2b26, v41
	v_fma_f16 v41, v41, s14, v40
	v_fma_f16 v48, v44, s10, -v48
	v_fma_f16 v40, v44, s11, -v40
	v_mul_f16_e32 v44, 0xb846, v49
	v_mul_f16_e32 v49, 0x3b00, v45
	v_add_f16_e32 v19, v19, v42
	v_fma_f16 v45, v45, s7, -v44
	v_fma_f16 v44, v47, s13, v44
	v_fma_f16 v47, v47, s12, -v49
	v_fma_f16 v42, v42, s5, v19
	v_add_f16_e32 v41, v41, v42
	v_add_f16_e32 v48, v48, v42
	;; [unrolled: 1-line block ×3, first 2 shown]
	v_fma_f16 v42, v43, s4, v44
	v_fma_f16 v44, v43, s4, v45
	;; [unrolled: 1-line block ×3, first 2 shown]
	v_sub_f16_e32 v45, v48, v44
	v_add_f16_e32 v44, v44, v48
	v_add_f16_e32 v47, v43, v40
	v_sub_f16_e32 v40, v40, v43
	v_add_f16_e32 v43, v42, v41
	v_sub_f16_e32 v41, v41, v42
	v_add_f16_e32 v42, v105, v127
	v_add_f16_e32 v48, v106, v125
	v_add_f16_e32 v49, v108, v111
	v_add_f16_e32 v50, v48, v42
	v_sub_f16_e32 v51, v48, v42
	v_sub_f16_e32 v42, v42, v49
	v_sub_f16_e32 v48, v49, v48
	v_add_f16_e32 v49, v49, v50
	v_sub_f16_e32 v50, v107, v129
	v_add_f16_e32 v54, v53, v52
	v_sub_f16_e32 v55, v53, v52
	v_sub_f16_e32 v53, v50, v53
	;; [unrolled: 1-line block ×3, first 2 shown]
	v_add_f16_e32 v50, v54, v50
	v_mul_f16_e32 v42, 0x3a52, v42
	v_mul_f16_e32 v54, 0x2b26, v48
	v_fma_f16 v48, v48, s14, v42
	v_fma_f16 v54, v51, s10, -v54
	v_fma_f16 v42, v51, s11, -v42
	v_mul_f16_e32 v51, 0xb846, v55
	v_mul_f16_e32 v55, 0x3b00, v52
	v_add_f16_e32 v13, v13, v49
	v_fma_f16 v52, v52, s7, -v51
	v_fma_f16 v51, v53, s13, v51
	v_fma_f16 v53, v53, s12, -v55
	v_fma_f16 v49, v49, s5, v13
	v_add_f16_e32 v48, v48, v49
	v_add_f16_e32 v54, v54, v49
	;; [unrolled: 1-line block ×3, first 2 shown]
	v_fma_f16 v49, v50, s4, v51
	v_fma_f16 v51, v50, s4, v52
	;; [unrolled: 1-line block ×3, first 2 shown]
	v_sub_f16_e32 v52, v54, v51
	v_add_f16_e32 v51, v51, v54
	v_add_f16_e32 v53, v50, v42
	v_sub_f16_e32 v42, v42, v50
	v_add_f16_e32 v50, v49, v48
	v_sub_f16_e32 v48, v48, v49
	v_add_f16_e32 v49, v97, v123
	v_add_f16_e32 v54, v98, v121
	;; [unrolled: 1-line block ×4, first 2 shown]
	v_sub_f16_e32 v62, v101, v122
	v_sub_f16_e32 v63, v104, v102
	v_sub_f16_e32 v60, v54, v49
	v_sub_f16_e32 v49, v49, v55
	v_sub_f16_e32 v54, v55, v54
	v_add_f16_e32 v55, v55, v59
	v_sub_f16_e32 v59, v99, v124
	v_add_f16_e32 v64, v63, v62
	v_sub_f16_e32 v65, v63, v62
	v_sub_f16_e32 v63, v59, v63
	;; [unrolled: 1-line block ×3, first 2 shown]
	v_add_f16_e32 v59, v64, v59
	v_mul_f16_e32 v49, 0x3a52, v49
	v_mul_f16_e32 v64, 0x2b26, v54
	v_fma_f16 v54, v54, s14, v49
	v_fma_f16 v64, v60, s10, -v64
	v_fma_f16 v49, v60, s11, -v49
	v_mul_f16_e32 v60, 0xb846, v65
	v_mul_f16_e32 v65, 0x3b00, v62
	v_add_f16_e32 v7, v7, v55
	v_fma_f16 v62, v62, s7, -v60
	v_fma_f16 v60, v63, s13, v60
	v_fma_f16 v63, v63, s12, -v65
	v_fma_f16 v55, v55, s5, v7
	v_add_f16_e32 v54, v54, v55
	v_add_f16_e32 v64, v64, v55
	;; [unrolled: 1-line block ×3, first 2 shown]
	v_fma_f16 v55, v59, s4, v60
	v_fma_f16 v60, v59, s4, v62
	;; [unrolled: 1-line block ×3, first 2 shown]
	v_sub_f16_e32 v62, v64, v60
	v_add_f16_e32 v60, v60, v64
	v_add_f16_e32 v63, v59, v49
	v_sub_f16_e32 v49, v49, v59
	v_add_f16_e32 v59, v55, v54
	v_sub_f16_e32 v54, v54, v55
	v_add_f16_e32 v55, v58, v90
	v_add_f16_e32 v64, v80, v4
	v_add_f16_e32 v65, v82, v85
	v_add_f16_e32 v66, v64, v55
	v_sub_f16_e32 v146, v83, v5
	v_sub_f16_e32 v147, v86, v84
	;; [unrolled: 1-line block ×5, first 2 shown]
	v_add_f16_e32 v65, v65, v66
	v_sub_f16_e32 v66, v81, v92
	v_add_f16_e32 v148, v147, v146
	v_sub_f16_e32 v149, v147, v146
	v_sub_f16_e32 v147, v66, v147
	;; [unrolled: 1-line block ×3, first 2 shown]
	v_add_f16_e32 v66, v148, v66
	v_mul_f16_e32 v55, 0x3a52, v55
	v_mul_f16_e32 v148, 0x2b26, v64
	v_fma_f16 v64, v64, s14, v55
	v_fma_f16 v148, v145, s10, -v148
	v_fma_f16 v55, v145, s11, -v55
	v_mul_f16_e32 v145, 0xb846, v149
	v_add_f16_e32 v6, v6, v65
	v_mul_f16_e32 v149, 0x3b00, v146
	v_fma_f16 v146, v146, s7, -v145
	v_fma_f16 v145, v147, s13, v145
	v_fma_f16 v65, v65, s5, v6
	v_add_f16_e32 v64, v64, v65
	v_add_f16_e32 v148, v148, v65
	;; [unrolled: 1-line block ×3, first 2 shown]
	v_fma_f16 v65, v66, s4, v145
	v_fma_f16 v145, v66, s4, v146
	v_fma_f16 v147, v147, s12, -v149
	v_sub_f16_e32 v146, v148, v145
	v_add_f16_e32 v145, v145, v148
	v_lshl_add_u32 v148, v17, 1, 0
	v_lshl_add_u32 v149, v18, 1, 0
	v_fma_f16 v66, v66, s4, v147
	s_waitcnt lgkmcnt(0)
	; wave barrier
	s_waitcnt lgkmcnt(0)
	ds_write_b16 v9, v22
	ds_write_b16 v9, v27 offset:98
	ds_write_b16 v9, v30 offset:196
	;; [unrolled: 1-line block ×34, first 2 shown]
	v_lshl_add_u32 v13, v57, 1, 0
	v_add_f16_e32 v147, v66, v55
	v_sub_f16_e32 v55, v55, v66
	v_add_f16_e32 v66, v65, v64
	v_sub_f16_e32 v64, v64, v65
	ds_write_b16 v13, v7 offset:3430
	ds_write_b16 v13, v59 offset:3528
	;; [unrolled: 1-line block ×7, first 2 shown]
	v_lshl_add_u32 v7, v56, 1, 0
	ds_write_b16 v7, v6 offset:4116
	ds_write_b16 v7, v66 offset:4214
	ds_write_b16 v7, v147 offset:4312
	ds_write_b16 v7, v146 offset:4410
	ds_write_b16 v7, v145 offset:4508
	ds_write_b16 v7, v55 offset:4606
	ds_write_b16 v7, v64 offset:4704
	s_waitcnt lgkmcnt(0)
	; wave barrier
	s_waitcnt lgkmcnt(0)
	ds_read_u16 v32, v9 offset:2254
	ds_read_u16 v33, v9 offset:2940
	;; [unrolled: 1-line block ×6, first 2 shown]
	ds_read_u16 v17, v9
	ds_read_u16 v24, v9 offset:98
	ds_read_u16 v31, v9 offset:196
	;; [unrolled: 1-line block ×42, first 2 shown]
	v_add_f16_e32 v6, v115, v133
	v_add_f16_e32 v115, v116, v131
	v_sub_f16_e32 v114, v114, v130
	v_add_f16_e32 v116, v118, v120
	v_sub_f16_e32 v117, v119, v117
	v_add_f16_e32 v118, v115, v6
	v_sub_f16_e32 v113, v113, v132
	v_sub_f16_e32 v119, v115, v6
	v_sub_f16_e32 v6, v6, v116
	;; [unrolled: 1-line block ×3, first 2 shown]
	v_add_f16_e32 v116, v116, v118
	v_add_f16_e32 v118, v117, v114
	v_sub_f16_e32 v120, v117, v114
	v_sub_f16_e32 v117, v113, v117
	;; [unrolled: 1-line block ×3, first 2 shown]
	v_add_f16_e32 v113, v118, v113
	v_mul_f16_e32 v6, 0x3a52, v6
	v_mul_f16_e32 v118, 0x2b26, v115
	v_fma_f16 v115, v115, s14, v6
	v_fma_f16 v118, v119, s10, -v118
	v_fma_f16 v6, v119, s11, -v6
	v_mul_f16_e32 v119, 0xb846, v120
	v_mul_f16_e32 v120, 0x3b00, v114
	v_fma_f16 v114, v114, s7, -v119
	v_fma_f16 v119, v117, s13, v119
	v_fma_f16 v117, v117, s12, -v120
	v_add_f16_e32 v120, v135, v116
	v_fma_f16 v116, v116, s5, v120
	v_add_f16_e32 v115, v115, v116
	v_add_f16_e32 v118, v118, v116
	;; [unrolled: 1-line block ×3, first 2 shown]
	v_fma_f16 v116, v113, s4, v119
	v_fma_f16 v114, v113, s4, v114
	v_fma_f16 v113, v113, s4, v117
	v_add_f16_e32 v117, v114, v118
	v_sub_f16_e32 v114, v118, v114
	v_sub_f16_e32 v118, v6, v113
	v_add_f16_e32 v6, v113, v6
	s_waitcnt lgkmcnt(0)
	; wave barrier
	s_waitcnt lgkmcnt(0)
	ds_write_b16 v148, v138 offset:1372
	ds_write_b16 v148, v143 offset:1470
	;; [unrolled: 1-line block ×7, first 2 shown]
	v_sub_f16_e32 v113, v115, v116
	v_add_f16_e32 v115, v116, v115
	ds_write_b16 v149, v120 offset:2058
	ds_write_b16 v149, v113 offset:2156
	;; [unrolled: 1-line block ×7, first 2 shown]
	v_add_f16_e32 v6, v107, v129
	v_add_f16_e32 v107, v109, v126
	v_sub_f16_e32 v106, v106, v125
	v_add_f16_e32 v109, v110, v112
	v_sub_f16_e32 v108, v111, v108
	;; [unrolled: 2-line block ×3, first 2 shown]
	v_sub_f16_e32 v111, v107, v6
	v_sub_f16_e32 v6, v6, v109
	;; [unrolled: 1-line block ×3, first 2 shown]
	v_add_f16_e32 v109, v109, v110
	v_add_f16_e32 v110, v108, v106
	v_sub_f16_e32 v112, v108, v106
	v_sub_f16_e32 v108, v105, v108
	;; [unrolled: 1-line block ×3, first 2 shown]
	v_add_f16_e32 v105, v110, v105
	v_mul_f16_e32 v6, 0x3a52, v6
	v_mul_f16_e32 v110, 0x2b26, v107
	v_fma_f16 v107, v107, s14, v6
	v_fma_f16 v110, v111, s10, -v110
	v_fma_f16 v6, v111, s11, -v6
	v_mul_f16_e32 v111, 0xb846, v112
	v_mul_f16_e32 v112, 0x3b00, v106
	v_fma_f16 v106, v106, s7, -v111
	v_fma_f16 v111, v108, s13, v111
	v_fma_f16 v108, v108, s12, -v112
	v_add_f16_e32 v112, v136, v109
	v_fma_f16 v109, v109, s5, v112
	v_add_f16_e32 v107, v107, v109
	v_add_f16_e32 v110, v110, v109
	;; [unrolled: 1-line block ×3, first 2 shown]
	v_fma_f16 v109, v105, s4, v111
	v_fma_f16 v106, v105, s4, v106
	;; [unrolled: 1-line block ×3, first 2 shown]
	v_add_f16_e32 v108, v106, v110
	v_sub_f16_e32 v106, v110, v106
	v_sub_f16_e32 v110, v6, v105
	v_add_f16_e32 v6, v105, v6
	v_sub_f16_e32 v105, v107, v109
	v_add_f16_e32 v107, v109, v107
	ds_write_b16 v150, v112 offset:2744
	ds_write_b16 v150, v105 offset:2842
	;; [unrolled: 1-line block ×7, first 2 shown]
	v_add_f16_e32 v6, v99, v124
	v_add_f16_e32 v99, v101, v122
	v_sub_f16_e32 v98, v98, v121
	v_add_f16_e32 v101, v102, v104
	v_sub_f16_e32 v100, v103, v100
	;; [unrolled: 2-line block ×3, first 2 shown]
	v_sub_f16_e32 v103, v99, v6
	v_sub_f16_e32 v6, v6, v101
	;; [unrolled: 1-line block ×3, first 2 shown]
	v_add_f16_e32 v101, v101, v102
	v_add_f16_e32 v102, v100, v98
	v_sub_f16_e32 v104, v100, v98
	v_sub_f16_e32 v100, v97, v100
	;; [unrolled: 1-line block ×3, first 2 shown]
	v_add_f16_e32 v97, v102, v97
	v_mul_f16_e32 v6, 0x3a52, v6
	v_mul_f16_e32 v102, 0x2b26, v99
	v_fma_f16 v99, v99, s14, v6
	v_fma_f16 v102, v103, s10, -v102
	v_fma_f16 v6, v103, s11, -v6
	v_mul_f16_e32 v103, 0xb846, v104
	v_mul_f16_e32 v104, 0x3b00, v98
	v_fma_f16 v98, v98, s7, -v103
	v_fma_f16 v103, v100, s13, v103
	v_fma_f16 v100, v100, s12, -v104
	v_add_f16_e32 v104, v137, v101
	v_fma_f16 v101, v101, s5, v104
	v_add_f16_e32 v99, v99, v101
	v_add_f16_e32 v102, v102, v101
	;; [unrolled: 1-line block ×3, first 2 shown]
	v_fma_f16 v101, v97, s4, v103
	v_fma_f16 v98, v97, s4, v98
	;; [unrolled: 1-line block ×3, first 2 shown]
	v_add_f16_e32 v100, v98, v102
	v_sub_f16_e32 v98, v102, v98
	v_sub_f16_e32 v102, v6, v97
	v_add_f16_e32 v6, v97, v6
	v_sub_f16_e32 v97, v99, v101
	v_add_f16_e32 v99, v101, v99
	ds_write_b16 v13, v104 offset:3430
	ds_write_b16 v13, v97 offset:3528
	;; [unrolled: 1-line block ×7, first 2 shown]
	v_add_f16_e32 v6, v69, v96
	v_sub_f16_e32 v13, v68, v95
	v_add_f16_e32 v68, v71, v94
	v_sub_f16_e32 v69, v70, v93
	;; [unrolled: 2-line block ×4, first 2 shown]
	v_sub_f16_e32 v6, v6, v70
	v_sub_f16_e32 v68, v70, v68
	v_add_f16_e32 v70, v70, v72
	v_add_f16_e32 v72, v71, v69
	v_sub_f16_e32 v77, v71, v69
	v_sub_f16_e32 v71, v13, v71
	;; [unrolled: 1-line block ×3, first 2 shown]
	v_add_f16_e32 v13, v72, v13
	v_mul_f16_e32 v6, 0x3a52, v6
	v_mul_f16_e32 v72, 0x2b26, v68
	v_fma_f16 v68, v68, s14, v6
	v_fma_f16 v72, v73, s10, -v72
	v_fma_f16 v6, v73, s11, -v6
	v_mul_f16_e32 v73, 0xb846, v77
	v_mul_f16_e32 v77, 0x3b00, v69
	v_fma_f16 v69, v69, s7, -v73
	v_fma_f16 v73, v71, s13, v73
	v_fma_f16 v71, v71, s12, -v77
	v_add_f16_e32 v77, v134, v70
	v_fma_f16 v70, v70, s5, v77
	v_add_f16_e32 v68, v68, v70
	v_add_f16_e32 v72, v72, v70
	;; [unrolled: 1-line block ×3, first 2 shown]
	v_fma_f16 v70, v13, s4, v73
	v_fma_f16 v69, v13, s4, v69
	;; [unrolled: 1-line block ×3, first 2 shown]
	v_add_f16_e32 v71, v69, v72
	v_sub_f16_e32 v69, v72, v69
	v_sub_f16_e32 v72, v6, v13
	v_add_f16_e32 v6, v13, v6
	v_sub_f16_e32 v13, v68, v70
	v_add_f16_e32 v68, v70, v68
	v_add_f16_e32 v70, v75, v91
	v_sub_f16_e32 v73, v74, v89
	v_add_f16_e32 v74, v76, v88
	v_sub_f16_e32 v0, v0, v87
	;; [unrolled: 2-line block ×4, first 2 shown]
	v_sub_f16_e32 v70, v70, v2
	v_sub_f16_e32 v74, v2, v74
	v_add_f16_e32 v2, v2, v3
	v_add_f16_e32 v3, v1, v0
	v_sub_f16_e32 v76, v1, v0
	v_sub_f16_e32 v1, v73, v1
	;; [unrolled: 1-line block ×3, first 2 shown]
	v_add_f16_e32 v3, v3, v73
	v_mul_f16_e32 v70, 0x3a52, v70
	v_mul_f16_e32 v73, 0x2b26, v74
	v_fma_f16 v74, v74, s14, v70
	v_fma_f16 v73, v75, s10, -v73
	v_fma_f16 v70, v75, s11, -v70
	v_mul_f16_e32 v75, 0xb846, v76
	v_mul_f16_e32 v76, 0x3b00, v0
	v_fma_f16 v0, v0, s7, -v75
	v_fma_f16 v75, v1, s13, v75
	v_fma_f16 v1, v1, s12, -v76
	v_add_f16_e32 v76, v128, v2
	v_fma_f16 v2, v2, s5, v76
	v_add_f16_e32 v74, v74, v2
	v_add_f16_e32 v73, v73, v2
	v_add_f16_e32 v2, v70, v2
	v_fma_f16 v70, v3, s4, v75
	v_fma_f16 v0, v3, s4, v0
	;; [unrolled: 1-line block ×3, first 2 shown]
	v_add_f16_e32 v3, v0, v73
	v_sub_f16_e32 v0, v73, v0
	v_sub_f16_e32 v73, v2, v1
	v_add_f16_e32 v1, v1, v2
	v_sub_f16_e32 v2, v74, v70
	v_add_f16_e32 v70, v70, v74
	v_add_f16_e32 v74, v81, v92
	;; [unrolled: 1-line block ×3, first 2 shown]
	v_sub_f16_e32 v4, v80, v4
	v_add_f16_e32 v75, v84, v86
	v_sub_f16_e32 v78, v85, v82
	v_add_f16_e32 v79, v5, v74
	v_sub_f16_e32 v58, v58, v90
	v_sub_f16_e32 v80, v5, v74
	;; [unrolled: 1-line block ×4, first 2 shown]
	v_add_f16_e32 v75, v75, v79
	v_add_f16_e32 v79, v78, v4
	v_sub_f16_e32 v81, v78, v4
	v_sub_f16_e32 v78, v58, v78
	;; [unrolled: 1-line block ×3, first 2 shown]
	v_add_f16_e32 v58, v79, v58
	v_mul_f16_e32 v74, 0x3a52, v74
	v_mul_f16_e32 v79, 0x2b26, v5
	v_fma_f16 v5, v5, s14, v74
	v_fma_f16 v79, v80, s10, -v79
	v_fma_f16 v74, v80, s11, -v74
	v_mul_f16_e32 v80, 0xb846, v81
	v_mul_f16_e32 v81, 0x3b00, v4
	v_add_f16_e32 v67, v67, v75
	v_fma_f16 v4, v4, s7, -v80
	v_fma_f16 v80, v78, s13, v80
	v_fma_f16 v78, v78, s12, -v81
	v_fma_f16 v75, v75, s5, v67
	v_add_f16_e32 v5, v5, v75
	v_add_f16_e32 v79, v79, v75
	;; [unrolled: 1-line block ×3, first 2 shown]
	v_fma_f16 v75, v58, s4, v80
	v_fma_f16 v4, v58, s4, v4
	;; [unrolled: 1-line block ×3, first 2 shown]
	v_add_f16_e32 v78, v4, v79
	v_sub_f16_e32 v4, v79, v4
	v_sub_f16_e32 v79, v74, v58
	v_add_f16_e32 v58, v58, v74
	v_sub_f16_e32 v74, v5, v75
	v_add_f16_e32 v5, v75, v5
	ds_write_b16 v9, v77
	ds_write_b16 v9, v13 offset:98
	ds_write_b16 v9, v72 offset:196
	;; [unrolled: 1-line block ×20, first 2 shown]
	s_waitcnt lgkmcnt(0)
	; wave barrier
	s_waitcnt lgkmcnt(0)
	s_and_saveexec_b64 s[14:15], s[0:1]
	s_cbranch_execz .LBB0_13
; %bb.12:
	v_mul_u32_u24_e32 v0, 6, v14
	v_lshlrev_b32_e32 v4, 2, v0
	global_load_dwordx4 v[0:3], v4, s[8:9] offset:1344
	global_load_dwordx2 v[6:7], v4, s[8:9] offset:1360
	v_mov_b32_e32 v4, 0xfffffeda
	ds_read_u16 v67, v9 offset:4704
	v_mov_b32_e32 v5, 0
	v_mad_u32_u24 v4, v14, 6, v4
	v_mov_b32_e32 v58, s9
	v_add_co_u32_e32 v12, vcc, s8, v12
	v_lshlrev_b64 v[74:75], 2, v[4:5]
	v_addc_co_u32_e32 v13, vcc, 0, v58, vcc
	v_add_co_u32_e32 v78, vcc, s8, v74
	ds_read_u16 v71, v9 offset:1470
	ds_read_u16 v68, v9 offset:1372
	;; [unrolled: 1-line block ×30, first 2 shown]
	v_addc_co_u32_e32 v79, vcc, v58, v75, vcc
	s_movk_i32 s0, 0x1000
	s_movk_i32 s1, 0x2000
	s_waitcnt vmcnt(1)
	v_lshrrev_b32_e32 v4, 16, v0
	v_lshrrev_b32_e32 v75, 16, v3
	;; [unrolled: 1-line block ×3, first 2 shown]
	s_waitcnt vmcnt(0)
	v_lshrrev_b32_e32 v102, 16, v7
	s_waitcnt lgkmcnt(14)
	v_mul_f16_e32 v103, v7, v67
	v_mul_f16_e32 v104, v0, v76
	;; [unrolled: 1-line block ×8, first 2 shown]
	v_fma_f16 v102, v66, v102, v103
	v_fma_f16 v4, v63, v4, v104
	;; [unrolled: 1-line block ×4, first 2 shown]
	v_fma_f16 v63, v63, v0, -v76
	v_fma_f16 v3, v65, v3, -v77
	global_load_dwordx4 v[74:77], v[78:79], off offset:1344
	v_lshrrev_b32_e32 v89, 16, v1
	global_load_dwordx2 v[78:79], v[78:79], off offset:1360
	v_lshrrev_b32_e32 v100, 16, v6
	s_waitcnt lgkmcnt(1)
	v_mul_f16_e32 v109, v6, v88
	v_mul_f16_e32 v110, v89, v86
	;; [unrolled: 1-line block ×3, first 2 shown]
	v_fma_f16 v2, v64, v2, -v81
	v_fma_f16 v64, v61, v1, -v110
	;; [unrolled: 1-line block ×4, first 2 shown]
	v_sub_f16_e32 v67, v3, v2
	v_sub_f16_e32 v88, v64, v6
	v_mul_f16_e32 v1, v1, v86
	v_add_f16_e32 v2, v3, v2
	v_add_f16_e32 v64, v64, v6
	v_sub_f16_e32 v66, v63, v7
	v_fma_f16 v62, v62, v100, v109
	v_fma_f16 v61, v61, v89, v1
	v_add_f16_e32 v7, v63, v7
	v_sub_f16_e32 v6, v2, v64
	v_add_f16_e32 v0, v104, v103
	v_add_f16_e32 v86, v61, v62
	v_sub_f16_e32 v3, v7, v2
	v_mul_f16_e32 v113, 0x2b26, v6
	v_sub_f16_e32 v1, v0, v86
	v_mul_f16_e32 v63, 0x3a52, v3
	v_fma_f16 v6, v3, s6, v113
	v_add_f16_e32 v3, v7, v64
	v_mul_f16_e32 v89, 0x2b26, v1
	ds_read_u16 v1, v9 offset:588
	v_add_f16_e32 v2, v2, v3
	v_add_f16_e32 v65, v4, v102
	;; [unrolled: 1-line block ×3, first 2 shown]
	v_sub_f16_e32 v81, v65, v0
	v_fma_f16 v114, v2, s5, v3
	v_sub_f16_e32 v4, v4, v102
	v_sub_f16_e32 v2, v104, v103
	;; [unrolled: 1-line block ×3, first 2 shown]
	v_mul_f16_e32 v110, 0x3a52, v81
	v_fma_f16 v100, v81, s6, v89
	v_add_f16_e32 v81, v65, v86
	v_add_f16_e32 v115, v6, v114
	v_sub_f16_e32 v60, v4, v2
	v_sub_f16_e32 v6, v2, v61
	v_add_f16_e32 v2, v2, v61
	v_sub_f16_e32 v64, v64, v7
	v_sub_f16_e32 v105, v66, v67
	;; [unrolled: 1-line block ×3, first 2 shown]
	v_add_f16_e32 v67, v67, v88
	v_add_f16_e32 v0, v0, v81
	v_mul_f16_e32 v62, 0xb846, v6
	v_add_f16_e32 v102, v4, v2
	v_fma_f16 v7, v64, s11, -v63
	v_sub_f16_e32 v4, v61, v4
	v_add_f16_e32 v67, v66, v67
	s_waitcnt lgkmcnt(0)
	v_add_f16_e32 v1, v1, v0
	v_fma_f16 v6, v60, s13, v62
	v_sub_f16_e32 v66, v88, v66
	v_sub_f16_e32 v65, v86, v65
	v_add_f16_e32 v104, v7, v114
	v_mul_f16_e32 v7, 0x3b00, v4
	v_mul_f16_e32 v106, 0xb846, v106
	v_fma_f16 v112, v0, s5, v1
	v_fma_f16 v103, v102, s4, v6
	v_mul_f16_e32 v6, 0x3b00, v66
	v_fma_f16 v7, v60, s12, -v7
	v_fma_f16 v60, v65, s10, -v89
	v_fma_f16 v6, v105, s12, -v6
	v_add_f16_e32 v63, v60, v112
	v_fma_f16 v60, v66, s7, -v106
	v_fma_f16 v4, v4, s7, -v62
	;; [unrolled: 1-line block ×3, first 2 shown]
	v_fma_f16 v88, v67, s4, v6
	v_fma_f16 v6, v65, s11, -v110
	v_fma_f16 v65, v67, s4, v60
	v_fma_f16 v4, v102, s4, v4
	v_add_f16_e32 v64, v61, v114
	v_add_f16_e32 v86, v6, v112
	v_sub_f16_e32 v60, v63, v65
	v_add_f16_e32 v61, v4, v64
	v_add_f16_e32 v62, v65, v63
	v_sub_f16_e32 v63, v64, v4
	s_waitcnt vmcnt(1)
	v_lshrrev_b32_e32 v4, 16, v74
	v_fma_f16 v111, v105, s13, v106
	v_add_f16_e32 v6, v88, v86
	v_fma_f16 v105, v102, s4, v7
	v_sub_f16_e32 v64, v86, v88
	v_mul_f16_e32 v86, v4, v80
	v_fma_f16 v111, v67, s4, v111
	v_add_f16_e32 v100, v100, v112
	v_sub_f16_e32 v7, v104, v105
	v_add_f16_e32 v65, v105, v104
	v_fma_f16 v105, v57, v74, -v86
	s_waitcnt vmcnt(0)
	v_lshrrev_b32_e32 v86, 16, v79
	v_add_f16_e32 v0, v111, v100
	v_sub_f16_e32 v2, v115, v103
	v_sub_f16_e32 v66, v100, v111
	v_add_f16_e32 v67, v103, v115
	v_lshrrev_b32_e32 v100, 16, v75
	v_lshrrev_b32_e32 v103, 16, v77
	v_mul_f16_e32 v88, v86, v87
	v_lshrrev_b32_e32 v102, 16, v76
	v_lshrrev_b32_e32 v106, 16, v78
	v_fma_f16 v110, v59, v79, -v88
	v_mul_f16_e32 v88, v103, v90
	v_mul_f16_e32 v89, v100, v97
	;; [unrolled: 1-line block ×3, first 2 shown]
	v_fma_f16 v113, v56, v77, -v88
	v_mul_f16_e32 v88, v102, v91
	v_fma_f16 v118, v53, v75, -v89
	v_mul_f16_e32 v89, v106, v99
	v_fma_f16 v57, v57, v4, v74
	v_mov_b32_e32 v4, 0xfffffdb4
	v_fma_f16 v115, v55, v76, -v88
	v_fma_f16 v119, v54, v78, -v89
	v_mul_f16_e32 v79, v79, v87
	v_mad_u32_u24 v4, v14, 6, v4
	v_sub_f16_e32 v88, v113, v115
	v_sub_f16_e32 v120, v118, v119
	v_fma_f16 v59, v59, v86, v79
	v_lshlrev_b64 v[79:80], 2, v[4:5]
	v_sub_f16_e32 v111, v105, v110
	v_sub_f16_e32 v89, v88, v120
	;; [unrolled: 1-line block ×3, first 2 shown]
	v_mul_f16_e32 v121, 0xb846, v89
	v_add_f16_e32 v88, v88, v120
	v_add_co_u32_e32 v79, vcc, s8, v79
	v_fma_f16 v89, v116, s13, v121
	v_add_f16_e32 v122, v111, v88
	v_addc_co_u32_e32 v80, vcc, v58, v80, vcc
	ds_read_u16 v81, v9 offset:686
	ds_read_u16 v109, v9 offset:490
	v_fma_f16 v123, v122, s4, v89
	global_load_dwordx4 v[86:89], v[79:80], off offset:1344
	v_mul_f16_e32 v4, v76, v91
	v_fma_f16 v4, v55, v102, v4
	v_mul_f16_e32 v55, v77, v90
	global_load_dwordx2 v[90:91], v[79:80], off offset:1360
	v_mul_f16_e32 v78, v78, v99
	v_fma_f16 v78, v54, v106, v78
	v_mul_f16_e32 v54, v75, v97
	v_fma_f16 v75, v53, v100, v54
	v_add_f16_e32 v74, v57, v59
	v_fma_f16 v56, v56, v103, v55
	v_add_f16_e32 v79, v75, v78
	v_add_f16_e32 v55, v56, v4
	v_add_f16_e32 v54, v74, v79
	v_sub_f16_e32 v76, v74, v55
	v_sub_f16_e32 v53, v55, v79
	v_add_f16_e32 v55, v55, v54
	v_mul_f16_e32 v80, 0x2b26, v53
	s_waitcnt lgkmcnt(0)
	v_add_f16_e32 v54, v109, v55
	v_add_f16_e32 v99, v105, v110
	;; [unrolled: 1-line block ×3, first 2 shown]
	v_mul_f16_e32 v77, 0x3a52, v76
	v_fma_f16 v53, v76, s6, v80
	v_fma_f16 v76, v55, s5, v54
	v_add_f16_e32 v55, v113, v115
	v_add_f16_e32 v109, v99, v105
	;; [unrolled: 1-line block ×3, first 2 shown]
	v_sub_f16_e32 v57, v57, v59
	v_sub_f16_e32 v4, v56, v4
	;; [unrolled: 1-line block ×6, first 2 shown]
	v_add_f16_e32 v55, v52, v109
	v_sub_f16_e32 v59, v57, v4
	v_sub_f16_e32 v52, v4, v75
	v_add_f16_e32 v4, v4, v75
	v_mul_f16_e32 v56, 0x3b00, v111
	v_sub_f16_e32 v75, v75, v57
	ds_read_u16 v104, v9 offset:1078
	v_mul_f16_e32 v78, 0xb846, v52
	v_add_f16_e32 v4, v57, v4
	v_fma_f16 v56, v116, s12, -v56
	v_sub_f16_e32 v74, v79, v74
	v_mul_f16_e32 v57, 0x3b00, v75
	v_mul_f16_e32 v103, 0x3a52, v100
	;; [unrolled: 1-line block ×3, first 2 shown]
	v_fma_f16 v52, v59, s13, v78
	v_fma_f16 v113, v122, s4, v56
	v_fma_f16 v56, v74, s11, -v77
	v_sub_f16_e32 v79, v105, v99
	v_fma_f16 v57, v59, s12, -v57
	v_fma_f16 v59, v74, s10, -v80
	;; [unrolled: 1-line block ×3, first 2 shown]
	v_add_f16_e32 v97, v53, v76
	v_fma_f16 v109, v109, s5, v55
	v_fma_f16 v110, v4, s4, v52
	v_add_f16_e32 v77, v56, v76
	v_fma_f16 v99, v79, s11, -v103
	v_fma_f16 v103, v4, s4, v57
	v_add_f16_e32 v76, v59, v76
	v_fma_f16 v59, v111, s7, -v121
	ds_read_u16 v121, v9 offset:1666
	v_fma_f16 v4, v4, s4, v74
	v_fma_f16 v74, v79, s10, -v106
	v_fma_f16 v80, v122, s4, v59
	v_add_f16_e32 v78, v74, v109
	ds_read_u16 v112, v9 offset:3136
	ds_read_u16 v114, v9 offset:2450
	;; [unrolled: 1-line block ×4, first 2 shown]
	v_fma_f16 v100, v100, s6, v106
	v_sub_f16_e32 v59, v76, v80
	v_add_f16_e32 v74, v4, v78
	v_add_f16_e32 v75, v80, v76
	v_sub_f16_e32 v76, v78, v4
	ds_read_u16 v102, v9 offset:392
	v_add_f16_e32 v53, v123, v97
	v_add_f16_e32 v100, v100, v109
	v_add_f16_e32 v99, v99, v109
	ds_read_u16 v109, v9 offset:980
	s_waitcnt vmcnt(1)
	v_lshrrev_b32_e32 v4, 16, v86
	v_sub_f16_e32 v79, v97, v123
	s_waitcnt lgkmcnt(7)
	v_mul_f16_e32 v97, v4, v104
	v_sub_f16_e32 v52, v100, v110
	v_add_f16_e32 v80, v110, v100
	v_fma_f16 v110, v50, v86, -v97
	s_waitcnt vmcnt(0)
	v_lshrrev_b32_e32 v97, 16, v91
	v_sub_f16_e32 v57, v99, v103
	v_add_f16_e32 v78, v103, v99
	v_mul_f16_e32 v99, v97, v98
	v_add_f16_e32 v56, v113, v77
	v_sub_f16_e32 v77, v77, v113
	v_lshrrev_b32_e32 v103, 16, v87
	v_lshrrev_b32_e32 v106, 16, v89
	v_fma_f16 v113, v51, v91, -v99
	v_mul_f16_e32 v91, v91, v98
	v_lshrrev_b32_e32 v105, 16, v88
	v_lshrrev_b32_e32 v111, 16, v90
	s_waitcnt lgkmcnt(5)
	v_mul_f16_e32 v99, v106, v112
	s_waitcnt lgkmcnt(2)
	v_mul_f16_e32 v100, v103, v117
	v_fma_f16 v91, v51, v97, v91
	v_mul_f16_e32 v51, v86, v104
	v_fma_f16 v116, v49, v89, -v99
	v_mul_f16_e32 v99, v105, v114
	v_fma_f16 v122, v47, v87, -v100
	v_mul_f16_e32 v100, v111, v92
	v_fma_f16 v86, v50, v4, v51
	v_mov_b32_e32 v4, 0xfffffc8e
	v_fma_f16 v119, v48, v88, -v99
	v_fma_f16 v123, v46, v90, -v100
	v_mad_u32_u24 v4, v14, 6, v4
	v_sub_f16_e32 v99, v116, v119
	v_sub_f16_e32 v124, v122, v123
	v_lshlrev_b64 v[50:51], 2, v[4:5]
	v_sub_f16_e32 v115, v110, v113
	v_sub_f16_e32 v100, v99, v124
	;; [unrolled: 1-line block ×3, first 2 shown]
	v_mul_f16_e32 v125, 0xb846, v100
	v_add_f16_e32 v99, v99, v124
	v_add_co_u32_e32 v50, vcc, s8, v50
	v_fma_f16 v100, v120, s13, v125
	v_add_f16_e32 v126, v115, v99
	v_addc_co_u32_e32 v51, vcc, v58, v51, vcc
	v_fma_f16 v127, v126, s4, v100
	global_load_dwordx4 v[97:100], v[50:51], off offset:1344
	v_mul_f16_e32 v4, v88, v114
	v_fma_f16 v4, v48, v105, v4
	v_mul_f16_e32 v48, v89, v112
	v_fma_f16 v49, v49, v106, v48
	global_load_dwordx2 v[105:106], v[50:51], off offset:1360
	v_mul_f16_e32 v51, v90, v92
	v_fma_f16 v51, v46, v111, v51
	v_mul_f16_e32 v46, v87, v117
	v_fma_f16 v87, v47, v103, v46
	v_add_f16_e32 v104, v86, v91
	v_add_f16_e32 v89, v87, v51
	;; [unrolled: 1-line block ×4, first 2 shown]
	v_sub_f16_e32 v88, v104, v48
	v_sub_f16_e32 v46, v48, v89
	v_add_f16_e32 v48, v48, v47
	v_mul_f16_e32 v90, 0x2b26, v46
	ds_read_u16 v111, v9 offset:294
	s_waitcnt lgkmcnt(2)
	v_add_f16_e32 v47, v102, v48
	v_add_f16_e32 v102, v110, v113
	;; [unrolled: 1-line block ×3, first 2 shown]
	v_mul_f16_e32 v50, 0x3a52, v88
	v_fma_f16 v46, v88, s6, v90
	v_fma_f16 v88, v48, s5, v47
	v_add_f16_e32 v48, v116, v119
	v_add_f16_e32 v114, v102, v112
	v_sub_f16_e32 v115, v124, v115
	v_sub_f16_e32 v103, v102, v48
	v_add_f16_e32 v114, v48, v114
	v_sub_f16_e32 v86, v86, v91
	v_sub_f16_e32 v4, v49, v4
	v_sub_f16_e32 v51, v87, v51
	v_mul_f16_e32 v49, 0x3b00, v115
	v_mul_f16_e32 v110, 0x3a52, v103
	v_sub_f16_e32 v113, v48, v112
	v_add_f16_e32 v48, v45, v114
	v_sub_f16_e32 v91, v86, v4
	v_sub_f16_e32 v45, v4, v51
	v_add_f16_e32 v4, v4, v51
	v_fma_f16 v49, v120, s12, -v49
	v_sub_f16_e32 v89, v89, v104
	v_sub_f16_e32 v102, v112, v102
	v_fma_f16 v114, v114, s5, v48
	v_add_f16_e32 v4, v86, v4
	v_fma_f16 v117, v126, s4, v49
	v_fma_f16 v49, v89, s11, -v50
	v_fma_f16 v50, v102, s11, -v110
	v_sub_f16_e32 v86, v51, v86
	v_mul_f16_e32 v87, 0xb846, v45
	v_add_f16_e32 v110, v50, v114
	v_mul_f16_e32 v50, 0x3b00, v86
	v_mul_f16_e32 v113, 0x2b26, v113
	v_fma_f16 v45, v91, s13, v87
	v_fma_f16 v50, v91, s12, -v50
	v_fma_f16 v51, v89, s10, -v90
	;; [unrolled: 1-line block ×3, first 2 shown]
	v_add_f16_e32 v92, v46, v88
	v_fma_f16 v116, v4, s4, v45
	v_add_f16_e32 v104, v49, v88
	v_fma_f16 v91, v4, s4, v50
	v_add_f16_e32 v88, v51, v88
	v_fma_f16 v51, v115, s7, -v125
	v_fma_f16 v4, v4, s4, v86
	v_fma_f16 v86, v102, s10, -v113
	v_fma_f16 v89, v126, s4, v51
	v_add_f16_e32 v90, v86, v114
	v_sub_f16_e32 v51, v88, v89
	v_add_f16_e32 v86, v4, v90
	v_add_f16_e32 v87, v89, v88
	v_sub_f16_e32 v88, v90, v4
	v_fma_f16 v103, v103, s6, v113
	v_add_f16_e32 v103, v103, v114
	v_add_f16_e32 v46, v127, v92
	v_sub_f16_e32 v45, v103, v116
	v_sub_f16_e32 v50, v110, v91
	v_add_f16_e32 v90, v91, v110
	v_sub_f16_e32 v91, v92, v127
	v_add_f16_e32 v92, v116, v103
	v_add_f16_e32 v49, v117, v104
	s_waitcnt vmcnt(1)
	v_lshrrev_b32_e32 v4, 16, v97
	s_waitcnt lgkmcnt(1)
	v_mul_f16_e32 v102, v4, v109
	v_fma_f16 v115, v43, v97, -v102
	v_lshrrev_b32_e32 v110, 16, v98
	v_lshrrev_b32_e32 v113, 16, v100
	s_waitcnt vmcnt(0)
	v_lshrrev_b32_e32 v102, 16, v106
	v_mul_f16_e32 v103, v102, v101
	v_mul_f16_e32 v101, v106, v101
	v_sub_f16_e32 v89, v104, v117
	v_lshrrev_b32_e32 v112, 16, v99
	v_lshrrev_b32_e32 v116, 16, v105
	v_fma_f16 v117, v44, v106, -v103
	v_mul_f16_e32 v103, v113, v108
	v_mul_f16_e32 v104, v110, v121
	v_fma_f16 v106, v44, v102, v101
	v_mul_f16_e32 v44, v97, v109
	ds_read_u16 v114, v9 offset:882
	ds_read_u16 v124, v9 offset:1568
	v_fma_f16 v120, v40, v100, -v103
	v_mul_f16_e32 v103, v112, v118
	v_fma_f16 v125, v41, v98, -v104
	v_mul_f16_e32 v104, v116, v107
	v_fma_f16 v97, v43, v4, v44
	v_mov_b32_e32 v4, 0xfffffb68
	v_fma_f16 v122, v42, v99, -v103
	v_fma_f16 v126, v39, v105, -v104
	v_mad_u32_u24 v4, v14, 6, v4
	v_sub_f16_e32 v103, v120, v122
	v_sub_f16_e32 v127, v125, v126
	v_lshlrev_b64 v[43:44], 2, v[4:5]
	v_sub_f16_e32 v119, v115, v117
	v_sub_f16_e32 v104, v103, v127
	;; [unrolled: 1-line block ×3, first 2 shown]
	v_mul_f16_e32 v128, 0xb846, v104
	v_add_f16_e32 v103, v103, v127
	v_add_co_u32_e32 v43, vcc, s8, v43
	v_fma_f16 v104, v123, s13, v128
	v_add_f16_e32 v129, v119, v103
	v_addc_co_u32_e32 v44, vcc, v58, v44, vcc
	v_fma_f16 v130, v129, s4, v104
	global_load_dwordx4 v[101:104], v[43:44], off offset:1344
	v_mul_f16_e32 v4, v99, v118
	v_fma_f16 v4, v42, v112, v4
	v_mul_f16_e32 v42, v100, v108
	v_fma_f16 v40, v40, v113, v42
	global_load_dwordx2 v[42:43], v[43:44], off offset:1360
	v_mul_f16_e32 v105, v105, v107
	v_mul_f16_e32 v98, v98, v121
	v_fma_f16 v39, v39, v116, v105
	v_fma_f16 v41, v41, v110, v98
	v_add_f16_e32 v109, v97, v106
	v_add_f16_e32 v98, v41, v39
	;; [unrolled: 1-line block ×4, first 2 shown]
	v_sub_f16_e32 v100, v109, v99
	v_sub_f16_e32 v105, v99, v98
	v_add_f16_e32 v99, v99, v107
	ds_read_u16 v107, v9 offset:196
	s_waitcnt lgkmcnt(3)
	v_add_f16_e32 v108, v111, v99
	v_add_f16_e32 v111, v115, v117
	v_add_f16_e32 v116, v125, v126
	v_sub_f16_e32 v97, v97, v106
	v_sub_f16_e32 v4, v40, v4
	;; [unrolled: 1-line block ×3, first 2 shown]
	v_add_f16_e32 v112, v120, v122
	v_add_f16_e32 v118, v111, v116
	v_sub_f16_e32 v40, v97, v4
	v_sub_f16_e32 v41, v4, v39
	v_add_f16_e32 v4, v4, v39
	v_sub_f16_e32 v39, v39, v97
	v_mul_f16_e32 v44, 0x3a52, v100
	v_mul_f16_e32 v105, 0x2b26, v105
	v_sub_f16_e32 v113, v111, v112
	v_sub_f16_e32 v117, v112, v116
	v_add_f16_e32 v112, v112, v118
	v_mul_f16_e32 v41, 0xb846, v41
	v_add_f16_e32 v4, v97, v4
	v_sub_f16_e32 v98, v98, v109
	v_mul_f16_e32 v97, 0x3b00, v39
	v_fma_f16 v100, v100, s6, v105
	v_fma_f16 v99, v99, s5, v108
	v_mul_f16_e32 v115, 0x3a52, v113
	v_mul_f16_e32 v117, 0x2b26, v117
	v_add_f16_e32 v118, v38, v112
	v_fma_f16 v106, v40, s13, v41
	v_sub_f16_e32 v119, v127, v119
	v_fma_f16 v44, v98, s11, -v44
	v_sub_f16_e32 v111, v116, v111
	v_fma_f16 v40, v40, s12, -v97
	v_fma_f16 v98, v98, s10, -v105
	;; [unrolled: 1-line block ×3, first 2 shown]
	v_add_f16_e32 v100, v100, v99
	v_fma_f16 v113, v113, s6, v117
	v_fma_f16 v38, v112, s5, v118
	;; [unrolled: 1-line block ×3, first 2 shown]
	v_add_f16_e32 v44, v44, v99
	v_fma_f16 v115, v111, s11, -v115
	v_fma_f16 v40, v4, s4, v40
	v_add_f16_e32 v98, v98, v99
	v_fma_f16 v99, v119, s7, -v128
	v_fma_f16 v4, v4, s4, v39
	v_fma_f16 v39, v111, s10, -v117
	v_add_f16_e32 v112, v113, v38
	v_mul_f16_e32 v120, 0x3b00, v119
	v_add_f16_e32 v115, v115, v38
	v_fma_f16 v99, v129, s4, v99
	v_add_f16_e32 v38, v39, v38
	v_fma_f16 v120, v123, s12, -v120
	v_sub_f16_e32 v105, v98, v99
	v_add_f16_e32 v111, v4, v38
	v_add_f16_e32 v98, v99, v98
	v_sub_f16_e32 v99, v38, v4
	v_fma_f16 v120, v129, s4, v120
	ds_read_u16 v119, v9 offset:784
	v_add_f16_e32 v109, v120, v44
	v_sub_f16_e32 v44, v44, v120
	v_sub_f16_e32 v113, v112, v106
	v_add_f16_e32 v106, v106, v112
	v_sub_f16_e32 v97, v115, v40
	v_add_f16_e32 v115, v40, v115
	s_waitcnt vmcnt(1)
	v_lshrrev_b32_e32 v4, 16, v101
	s_waitcnt lgkmcnt(3)
	v_mul_f16_e32 v38, v4, v114
	v_fma_f16 v120, v36, v101, -v38
	v_lshrrev_b32_e32 v112, 16, v102
	v_lshrrev_b32_e32 v117, 16, v104
	s_waitcnt vmcnt(0)
	v_lshrrev_b32_e32 v38, 16, v43
	v_mul_f16_e32 v39, v38, v96
	v_lshrrev_b32_e32 v116, 16, v103
	v_lshrrev_b32_e32 v121, 16, v42
	v_fma_f16 v122, v37, v43, -v39
	v_mul_f16_e32 v39, v117, v94
	s_waitcnt lgkmcnt(2)
	v_mul_f16_e32 v40, v112, v124
	v_fma_f16 v125, v33, v104, -v39
	v_mul_f16_e32 v39, v116, v95
	v_fma_f16 v128, v35, v102, -v40
	;; [unrolled: 2-line block ×3, first 2 shown]
	v_fma_f16 v129, v34, v42, -v40
	v_add_f16_e32 v110, v130, v100
	v_sub_f16_e32 v100, v100, v130
	v_sub_f16_e32 v123, v120, v122
	;; [unrolled: 1-line block ×6, first 2 shown]
	v_add_f16_e32 v39, v39, v130
	v_add_f16_e32 v132, v123, v39
	v_mul_f16_e32 v39, v43, v96
	v_fma_f16 v43, v37, v38, v39
	v_mul_f16_e32 v37, v101, v114
	v_fma_f16 v96, v36, v4, v37
	v_mov_b32_e32 v4, 0xfffffa42
	v_mad_u32_u24 v4, v14, 6, v4
	v_mul_f16_e32 v131, 0xb846, v40
	v_lshlrev_b64 v[36:37], 2, v[4:5]
	v_fma_f16 v40, v127, s13, v131
	v_fma_f16 v133, v132, s4, v40
	v_add_co_u32_e32 v40, vcc, s8, v36
	v_addc_co_u32_e32 v41, vcc, v58, v37, vcc
	global_load_dwordx4 v[36:39], v[40:41], off offset:1344
	v_mul_f16_e32 v42, v42, v93
	global_load_dwordx2 v[40:41], v[40:41], off offset:1360
	v_mul_f16_e32 v4, v103, v95
	v_fma_f16 v34, v34, v121, v42
	v_mul_f16_e32 v42, v102, v124
	v_fma_f16 v4, v32, v116, v4
	;; [unrolled: 2-line block ×3, first 2 shown]
	v_add_f16_e32 v101, v96, v43
	v_fma_f16 v32, v33, v117, v32
	v_add_f16_e32 v42, v35, v34
	v_add_f16_e32 v33, v32, v4
	;; [unrolled: 1-line block ×3, first 2 shown]
	v_sub_f16_e32 v58, v101, v33
	v_sub_f16_e32 v93, v33, v42
	v_add_f16_e32 v33, v33, v95
	ds_read_u16 v95, v9 offset:98
	v_add_f16_e32 v104, v120, v122
	v_add_f16_e32 v116, v128, v129
	v_sub_f16_e32 v43, v96, v43
	v_sub_f16_e32 v4, v32, v4
	;; [unrolled: 1-line block ×3, first 2 shown]
	s_waitcnt lgkmcnt(2)
	v_add_f16_e32 v102, v107, v33
	v_add_f16_e32 v107, v125, v126
	;; [unrolled: 1-line block ×3, first 2 shown]
	v_sub_f16_e32 v32, v43, v4
	v_sub_f16_e32 v35, v4, v34
	v_add_f16_e32 v4, v4, v34
	v_sub_f16_e32 v34, v34, v43
	v_sub_f16_e32 v112, v104, v107
	;; [unrolled: 1-line block ×3, first 2 shown]
	v_add_f16_e32 v107, v107, v120
	v_mul_f16_e32 v35, 0xb846, v35
	v_add_f16_e32 v4, v43, v4
	v_mul_f16_e32 v43, 0x3b00, v34
	v_mul_f16_e32 v94, 0x3a52, v58
	;; [unrolled: 1-line block ×5, first 2 shown]
	v_add_f16_e32 v120, v31, v107
	v_fma_f16 v96, v32, s13, v35
	v_sub_f16_e32 v121, v130, v123
	v_sub_f16_e32 v42, v42, v101
	;; [unrolled: 1-line block ×3, first 2 shown]
	v_fma_f16 v32, v32, s12, -v43
	v_fma_f16 v34, v34, s7, -v35
	v_fma_f16 v58, v58, s6, v93
	v_fma_f16 v33, v33, s5, v102
	;; [unrolled: 1-line block ×5, first 2 shown]
	v_mul_f16_e32 v122, 0x3b00, v121
	v_fma_f16 v94, v42, s11, -v94
	v_fma_f16 v114, v104, s11, -v114
	v_fma_f16 v32, v4, s4, v32
	v_fma_f16 v42, v42, s10, -v93
	v_fma_f16 v4, v4, s4, v34
	v_fma_f16 v34, v104, s10, -v117
	v_add_f16_e32 v58, v58, v33
	v_add_f16_e32 v107, v112, v31
	v_fma_f16 v122, v127, s12, -v122
	v_add_f16_e32 v94, v94, v33
	v_add_f16_e32 v114, v114, v31
	;; [unrolled: 1-line block ×3, first 2 shown]
	v_fma_f16 v42, v121, s7, -v131
	v_add_f16_e32 v31, v34, v31
	v_fma_f16 v122, v132, s4, v122
	v_fma_f16 v42, v132, s4, v42
	v_add_f16_e32 v34, v4, v31
	v_sub_f16_e32 v4, v31, v4
	v_add_f16_e32 v101, v122, v94
	v_sub_f16_e32 v43, v114, v32
	v_sub_f16_e32 v93, v33, v42
	v_add_f16_e32 v35, v42, v33
	v_sub_f16_e32 v42, v94, v122
	v_add_f16_e32 v94, v32, v114
	;; [unrolled: 2-line block ×3, first 2 shown]
	ds_read_u16 v9, v9
	s_waitcnt vmcnt(1)
	v_lshrrev_b32_e32 v31, 16, v36
	s_waitcnt lgkmcnt(2)
	v_mul_f16_e32 v32, v31, v119
	v_fma_f16 v116, v25, v36, -v32
	s_waitcnt vmcnt(0)
	v_lshrrev_b32_e32 v32, 16, v41
	v_lshrrev_b32_e32 v114, 16, v39
	v_mul_f16_e32 v33, v32, v85
	v_lshrrev_b32_e32 v104, 16, v37
	v_lshrrev_b32_e32 v107, 16, v38
	;; [unrolled: 1-line block ×3, first 2 shown]
	v_fma_f16 v121, v30, v41, -v33
	v_mul_f16_e32 v33, v114, v83
	v_fma_f16 v123, v29, v39, -v33
	v_mul_f16_e32 v33, v107, v84
	v_mul_f16_e32 v126, v104, v71
	;; [unrolled: 1-line block ×3, first 2 shown]
	v_fma_f16 v124, v28, v38, -v33
	v_fma_f16 v126, v26, v37, -v126
	;; [unrolled: 1-line block ×3, first 2 shown]
	v_sub_f16_e32 v122, v116, v121
	v_sub_f16_e32 v33, v123, v124
	;; [unrolled: 1-line block ×5, first 2 shown]
	v_add_f16_e32 v33, v33, v128
	v_add_f16_e32 v131, v122, v33
	v_mul_f16_e32 v33, v41, v85
	v_fma_f16 v41, v30, v32, v33
	v_mul_f16_e32 v30, v36, v119
	v_fma_f16 v25, v25, v31, v30
	global_load_dwordx4 v[30:33], v[12:13], off offset:1344
	v_mul_f16_e32 v38, v38, v84
	global_load_dwordx2 v[12:13], v[12:13], off offset:1360
	v_mul_f16_e32 v40, v40, v82
	v_mul_f16_e32 v37, v37, v71
	v_fma_f16 v28, v28, v107, v38
	v_mul_f16_e32 v38, v39, v83
	v_fma_f16 v27, v27, v117, v40
	v_fma_f16 v26, v26, v104, v37
	v_add_f16_e32 v36, v25, v41
	v_fma_f16 v29, v29, v114, v38
	v_add_f16_e32 v37, v26, v27
	v_add_f16_e32 v38, v29, v28
	;; [unrolled: 1-line block ×5, first 2 shown]
	v_sub_f16_e32 v25, v25, v41
	v_sub_f16_e32 v28, v29, v28
	;; [unrolled: 1-line block ×5, first 2 shown]
	v_add_f16_e32 v38, v38, v71
	v_add_f16_e32 v85, v123, v124
	;; [unrolled: 1-line block ×3, first 2 shown]
	v_sub_f16_e32 v29, v25, v28
	v_sub_f16_e32 v27, v28, v26
	v_add_f16_e32 v28, v28, v26
	s_waitcnt lgkmcnt(1)
	v_add_f16_e32 v71, v95, v38
	v_sub_f16_e32 v95, v84, v85
	v_sub_f16_e32 v114, v85, v107
	v_add_f16_e32 v85, v85, v116
	v_add_f16_e32 v28, v25, v28
	v_sub_f16_e32 v25, v26, v25
	v_mul_f16_e32 v104, 0x3a52, v95
	v_add_f16_e32 v24, v24, v85
	v_sub_f16_e32 v117, v128, v122
	v_sub_f16_e32 v84, v107, v84
	v_mul_f16_e32 v26, 0x3b00, v25
	v_mul_f16_e32 v129, 0xb846, v129
	v_mul_f16_e32 v83, 0x3a52, v39
	v_mul_f16_e32 v40, 0x2b26, v40
	v_mul_f16_e32 v114, 0x2b26, v114
	v_fma_f16 v85, v85, s5, v24
	v_mul_f16_e32 v27, 0xb846, v27
	v_mul_f16_e32 v119, 0x3b00, v117
	v_sub_f16_e32 v36, v37, v36
	v_fma_f16 v104, v84, s11, -v104
	v_fma_f16 v26, v29, s12, -v26
	v_fma_f16 v130, v125, s13, v129
	v_fma_f16 v39, v39, s6, v40
	;; [unrolled: 1-line block ×4, first 2 shown]
	v_fma_f16 v119, v125, s12, -v119
	v_fma_f16 v37, v36, s11, -v83
	v_add_f16_e32 v104, v104, v85
	v_fma_f16 v26, v28, s4, v26
	v_fma_f16 v36, v36, s10, -v40
	v_fma_f16 v25, v25, s7, -v27
	;; [unrolled: 1-line block ×3, first 2 shown]
	v_fma_f16 v130, v131, s4, v130
	v_add_f16_e32 v39, v39, v38
	v_fma_f16 v95, v95, s6, v114
	v_fma_f16 v119, v131, s4, v119
	v_add_f16_e32 v37, v37, v38
	v_sub_f16_e32 v29, v104, v26
	v_add_f16_e32 v36, v36, v38
	v_fma_f16 v38, v117, s7, -v129
	v_fma_f16 v25, v28, s4, v25
	v_add_f16_e32 v27, v27, v85
	v_add_f16_e32 v26, v26, v104
	v_add_f16_e32 v82, v130, v39
	v_add_f16_e32 v95, v95, v85
	v_fma_f16 v41, v28, s4, v41
	v_add_f16_e32 v83, v119, v37
	v_fma_f16 v38, v131, s4, v38
	v_add_f16_e32 v28, v25, v27
	v_sub_f16_e32 v25, v27, v25
	v_sub_f16_e32 v27, v37, v119
	v_sub_f16_e32 v37, v39, v130
	v_sub_f16_e32 v116, v95, v41
	s_waitcnt vmcnt(1)
	v_lshrrev_b32_e32 v39, 16, v30
	v_sub_f16_e32 v40, v36, v38
	s_waitcnt vmcnt(0)
	v_lshrrev_b32_e32 v104, 16, v12
	v_lshrrev_b32_e32 v107, 16, v13
	v_mul_f16_e32 v114, v107, v73
	v_mul_f16_e32 v125, v104, v69
	v_add_f16_e32 v36, v38, v36
	v_add_f16_e32 v38, v41, v95
	v_lshrrev_b32_e32 v41, 16, v31
	v_lshrrev_b32_e32 v84, 16, v32
	v_mul_f16_e32 v95, v39, v81
	v_fma_f16 v114, v23, v13, -v114
	v_fma_f16 v125, v20, v12, -v125
	v_mul_f16_e32 v13, v13, v73
	v_mul_f16_e32 v12, v12, v69
	v_lshrrev_b32_e32 v85, 16, v33
	v_fma_f16 v95, v19, v30, -v95
	v_mul_f16_e32 v121, v84, v72
	v_mul_f16_e32 v124, v41, v68
	v_fma_f16 v13, v23, v107, v13
	v_mul_f16_e32 v23, v30, v81
	v_mul_f16_e32 v30, v32, v72
	v_fma_f16 v12, v20, v104, v12
	v_mul_f16_e32 v20, v31, v68
	v_mul_f16_e32 v119, v85, v70
	v_fma_f16 v121, v21, v32, -v121
	v_fma_f16 v124, v18, v31, -v124
	v_fma_f16 v19, v19, v39, v23
	v_fma_f16 v21, v21, v84, v30
	v_mul_f16_e32 v30, v33, v70
	v_fma_f16 v18, v18, v41, v20
	v_fma_f16 v119, v22, v33, -v119
	v_add_f16_e32 v23, v19, v13
	v_fma_f16 v22, v22, v85, v30
	v_add_f16_e32 v20, v18, v12
	v_add_f16_e32 v30, v22, v21
	;; [unrolled: 1-line block ×3, first 2 shown]
	v_sub_f16_e32 v122, v119, v121
	v_sub_f16_e32 v126, v124, v125
	;; [unrolled: 1-line block ×4, first 2 shown]
	v_add_f16_e32 v30, v30, v39
	v_add_f16_e32 v41, v95, v114
	;; [unrolled: 1-line block ×3, first 2 shown]
	v_sub_f16_e32 v117, v95, v114
	v_sub_f16_e32 v127, v122, v126
	v_mul_f16_e32 v33, 0x3a52, v32
	v_mul_f16_e32 v31, 0x2b26, v31
	s_waitcnt lgkmcnt(0)
	v_add_f16_e32 v39, v9, v30
	v_add_f16_e32 v68, v119, v121
	;; [unrolled: 1-line block ×3, first 2 shown]
	v_sub_f16_e32 v13, v19, v13
	v_sub_f16_e32 v19, v22, v21
	;; [unrolled: 1-line block ×5, first 2 shown]
	v_mul_f16_e32 v127, 0xb846, v127
	v_add_f16_e32 v122, v122, v126
	v_fma_f16 v32, v32, s6, v31
	v_fma_f16 v9, v30, s5, v39
	v_sub_f16_e32 v69, v41, v68
	v_sub_f16_e32 v73, v68, v72
	v_add_f16_e32 v68, v68, v81
	v_sub_f16_e32 v18, v19, v12
	v_sub_f16_e32 v84, v126, v117
	v_fma_f16 v23, v20, s11, -v33
	v_fma_f16 v20, v20, s10, -v31
	v_add_f16_e32 v122, v117, v122
	v_add_f16_e32 v30, v32, v9
	v_mul_f16_e32 v73, 0x2b26, v73
	v_add_f16_e32 v17, v17, v68
	v_sub_f16_e32 v21, v13, v19
	v_mul_f16_e32 v18, 0xb846, v18
	v_add_f16_e32 v19, v19, v12
	v_mul_f16_e32 v85, 0x3b00, v84
	v_add_f16_e32 v23, v23, v9
	v_sub_f16_e32 v41, v72, v41
	v_sub_f16_e32 v12, v12, v13
	v_add_f16_e32 v9, v20, v9
	v_fma_f16 v20, v84, s7, -v127
	v_fma_f16 v128, v123, s13, v127
	v_fma_f16 v68, v68, s5, v17
	;; [unrolled: 1-line block ×3, first 2 shown]
	v_add_f16_e32 v19, v13, v19
	v_fma_f16 v85, v123, s12, -v85
	v_mul_f16_e32 v13, 0x3b00, v12
	v_fma_f16 v20, v122, s4, v20
	v_fma_f16 v12, v12, s7, -v18
	v_fma_f16 v18, v41, s10, -v73
	v_fma_f16 v128, v122, s4, v128
	v_fma_f16 v85, v122, s4, v85
	v_fma_f16 v13, v21, s12, -v13
	v_sub_f16_e32 v31, v9, v20
	v_fma_f16 v12, v19, s4, v12
	v_add_f16_e32 v18, v18, v68
	v_add_f16_e32 v20, v20, v9
	v_mov_b32_e32 v9, v5
	v_add_f16_e32 v32, v128, v30
	v_fma_f16 v22, v19, s4, v22
	v_add_f16_e32 v33, v85, v23
	v_fma_f16 v13, v19, s4, v13
	v_add_f16_e32 v19, v12, v18
	v_sub_f16_e32 v12, v18, v12
	v_sub_f16_e32 v18, v23, v85
	;; [unrolled: 1-line block ×3, first 2 shown]
	v_mov_b32_e32 v30, s3
	v_add_co_u32_e32 v10, vcc, s2, v10
	v_lshlrev_b64 v[8:9], 2, v[8:9]
	v_mul_f16_e32 v70, 0x3a52, v69
	v_fma_f16 v69, v69, s6, v73
	v_addc_co_u32_e32 v11, vcc, v30, v11, vcc
	v_add_f16_e32 v69, v69, v68
	v_fma_f16 v70, v41, s11, -v70
	v_add_co_u32_e32 v8, vcc, v10, v8
	v_sub_f16_e32 v81, v69, v22
	v_add_f16_e32 v70, v70, v68
	v_add_f16_e32 v22, v22, v69
	v_addc_co_u32_e32 v9, vcc, v11, v9, vcc
	v_pack_b32_f16 v10, v17, v39
	v_sub_f16_e32 v21, v70, v13
	v_add_f16_e32 v13, v13, v70
	global_store_dword v[8:9], v10, off
	v_pack_b32_f16 v10, v22, v23
	global_store_dword v[8:9], v10, off offset:1372
	v_pack_b32_f16 v10, v13, v18
	global_store_dword v[8:9], v10, off offset:2744
	v_add_co_u32_e32 v10, vcc, s0, v8
	v_pack_b32_f16 v12, v12, v20
	v_addc_co_u32_e32 v11, vcc, 0, v9, vcc
	global_store_dword v[10:11], v12, off offset:20
	v_pack_b32_f16 v12, v19, v31
	v_pack_b32_f16 v4, v4, v35
	global_store_dword v[10:11], v12, off offset:1392
	v_pack_b32_f16 v12, v21, v33
	global_store_dword v[10:11], v4, off offset:412
	v_pack_b32_f16 v4, v34, v93
	v_add_f16_e32 v103, v133, v58
	global_store_dword v[10:11], v12, off offset:2764
	v_add_co_u32_e32 v12, vcc, s1, v8
	global_store_dword v[10:11], v4, off offset:1784
	v_pack_b32_f16 v4, v43, v101
	v_addc_co_u32_e32 v13, vcc, 0, v9, vcc
	global_store_dword v[10:11], v4, off offset:3156
	v_pack_b32_f16 v4, v112, v103
	global_store_dword v[12:13], v4, off offset:432
	v_pack_b32_f16 v4, v118, v108
	;; [unrolled: 2-line block ×3, first 2 shown]
	v_pack_b32_f16 v17, v81, v32
	global_store_dword v[8:9], v4, off offset:1960
	v_pack_b32_f16 v4, v115, v44
	s_mov_b32 s2, 0xbf112a8b
	global_store_dword v[12:13], v17, off offset:40
	v_pack_b32_f16 v17, v24, v71
	global_store_dword v[8:9], v4, off offset:3332
	v_pack_b32_f16 v4, v99, v98
	v_mul_hi_u32 v16, v16, s2
	global_store_dword v[8:9], v17, off offset:196
	v_pack_b32_f16 v17, v38, v37
	global_store_dword v[10:11], v4, off offset:608
	v_pack_b32_f16 v4, v111, v105
	;; [unrolled: 2-line block ×7, first 2 shown]
	global_store_dword v[12:13], v4, off offset:628
	v_lshrrev_b32_e32 v4, 8, v16
	global_store_dword v[10:11], v17, off offset:1588
	v_pack_b32_f16 v17, v29, v83
	v_mul_u32_u24_e32 v4, 0x80a, v4
	global_store_dword v[10:11], v17, off offset:2960
	v_pack_b32_f16 v17, v116, v82
	v_lshlrev_b64 v[10:11], 2, v[4:5]
	v_sub_f16_e32 v58, v58, v133
	global_store_dword v[12:13], v17, off offset:236
	v_pack_b32_f16 v17, v120, v102
	global_store_dword v[8:9], v17, off offset:392
	v_pack_b32_f16 v17, v96, v58
	v_add_co_u32_e32 v10, vcc, v8, v10
	global_store_dword v[8:9], v17, off offset:1764
	v_pack_b32_f16 v17, v94, v42
	v_addc_co_u32_e32 v11, vcc, v9, v11, vcc
	v_pack_b32_f16 v4, v48, v47
	global_store_dword v[8:9], v17, off offset:3136
	global_store_dword v[10:11], v4, off offset:784
	v_pack_b32_f16 v4, v92, v91
	global_store_dword v[10:11], v4, off offset:2156
	v_pack_b32_f16 v4, v90, v89
	v_add_co_u32_e32 v12, vcc, s0, v10
	global_store_dword v[10:11], v4, off offset:3528
	v_pack_b32_f16 v4, v88, v87
	v_addc_co_u32_e32 v13, vcc, 0, v11, vcc
	global_store_dword v[12:13], v4, off offset:804
	v_pack_b32_f16 v4, v86, v51
	global_store_dword v[12:13], v4, off offset:2176
	v_pack_b32_f16 v4, v50, v49
	global_store_dword v[12:13], v4, off offset:3548
	v_mul_hi_u32 v12, v15, s2
	v_add_co_u32_e32 v10, vcc, s1, v10
	v_pack_b32_f16 v4, v45, v46
	v_addc_co_u32_e32 v11, vcc, 0, v11, vcc
	global_store_dword v[10:11], v4, off offset:824
	v_lshrrev_b32_e32 v4, 8, v12
	v_mul_u32_u24_e32 v4, 0x80a, v4
	v_lshlrev_b64 v[10:11], 2, v[4:5]
	v_pack_b32_f16 v4, v55, v54
	v_add_co_u32_e32 v10, vcc, v8, v10
	v_addc_co_u32_e32 v11, vcc, v9, v11, vcc
	global_store_dword v[10:11], v4, off offset:980
	v_pack_b32_f16 v4, v80, v79
	global_store_dword v[10:11], v4, off offset:2352
	v_pack_b32_f16 v4, v78, v77
	v_add_co_u32_e32 v12, vcc, s0, v10
	global_store_dword v[10:11], v4, off offset:3724
	v_pack_b32_f16 v4, v76, v75
	v_addc_co_u32_e32 v13, vcc, 0, v11, vcc
	global_store_dword v[12:13], v4, off offset:1000
	v_pack_b32_f16 v4, v74, v59
	global_store_dword v[12:13], v4, off offset:2372
	v_pack_b32_f16 v4, v57, v56
	global_store_dword v[12:13], v4, off offset:3744
	v_mul_hi_u32 v12, v14, s2
	v_add_co_u32_e32 v10, vcc, s1, v10
	v_pack_b32_f16 v4, v52, v53
	v_addc_co_u32_e32 v11, vcc, 0, v11, vcc
	global_store_dword v[10:11], v4, off offset:1020
	v_lshrrev_b32_e32 v4, 8, v12
	v_mul_u32_u24_e32 v4, 0x80a, v4
	v_lshlrev_b64 v[4:5], 2, v[4:5]
	v_pack_b32_f16 v1, v3, v1
	v_add_co_u32_e32 v4, vcc, v8, v4
	v_addc_co_u32_e32 v5, vcc, v9, v5, vcc
	global_store_dword v[4:5], v1, off offset:1176
	v_pack_b32_f16 v1, v67, v66
	global_store_dword v[4:5], v1, off offset:2548
	v_pack_b32_f16 v1, v65, v64
	v_add_co_u32_e32 v8, vcc, 0x1000, v4
	global_store_dword v[4:5], v1, off offset:3920
	v_pack_b32_f16 v1, v63, v62
	v_addc_co_u32_e32 v9, vcc, 0, v5, vcc
	global_store_dword v[8:9], v1, off offset:1196
	v_pack_b32_f16 v1, v61, v60
	global_store_dword v[8:9], v1, off offset:2568
	v_pack_b32_f16 v1, v7, v6
	v_pack_b32_f16 v2, v2, v0
	v_add_co_u32_e32 v0, vcc, 0x2000, v4
	global_store_dword v[8:9], v1, off offset:3940
	v_addc_co_u32_e32 v1, vcc, 0, v5, vcc
	global_store_dword v[0:1], v2, off offset:1216
.LBB0_13:
	s_endpgm
	.section	.rodata,"a",@progbits
	.p2align	6, 0x0
	.amdhsa_kernel fft_rtc_fwd_len2401_factors_7_7_7_7_wgs_49_tpt_49_halfLds_half_ip_CI_unitstride_sbrr_dirReg
		.amdhsa_group_segment_fixed_size 0
		.amdhsa_private_segment_fixed_size 0
		.amdhsa_kernarg_size 88
		.amdhsa_user_sgpr_count 6
		.amdhsa_user_sgpr_private_segment_buffer 1
		.amdhsa_user_sgpr_dispatch_ptr 0
		.amdhsa_user_sgpr_queue_ptr 0
		.amdhsa_user_sgpr_kernarg_segment_ptr 1
		.amdhsa_user_sgpr_dispatch_id 0
		.amdhsa_user_sgpr_flat_scratch_init 0
		.amdhsa_user_sgpr_private_segment_size 0
		.amdhsa_uses_dynamic_stack 0
		.amdhsa_system_sgpr_private_segment_wavefront_offset 0
		.amdhsa_system_sgpr_workgroup_id_x 1
		.amdhsa_system_sgpr_workgroup_id_y 0
		.amdhsa_system_sgpr_workgroup_id_z 0
		.amdhsa_system_sgpr_workgroup_info 0
		.amdhsa_system_vgpr_workitem_id 0
		.amdhsa_next_free_vgpr 160
		.amdhsa_next_free_sgpr 22
		.amdhsa_reserve_vcc 1
		.amdhsa_reserve_flat_scratch 0
		.amdhsa_float_round_mode_32 0
		.amdhsa_float_round_mode_16_64 0
		.amdhsa_float_denorm_mode_32 3
		.amdhsa_float_denorm_mode_16_64 3
		.amdhsa_dx10_clamp 1
		.amdhsa_ieee_mode 1
		.amdhsa_fp16_overflow 0
		.amdhsa_exception_fp_ieee_invalid_op 0
		.amdhsa_exception_fp_denorm_src 0
		.amdhsa_exception_fp_ieee_div_zero 0
		.amdhsa_exception_fp_ieee_overflow 0
		.amdhsa_exception_fp_ieee_underflow 0
		.amdhsa_exception_fp_ieee_inexact 0
		.amdhsa_exception_int_div_zero 0
	.end_amdhsa_kernel
	.text
.Lfunc_end0:
	.size	fft_rtc_fwd_len2401_factors_7_7_7_7_wgs_49_tpt_49_halfLds_half_ip_CI_unitstride_sbrr_dirReg, .Lfunc_end0-fft_rtc_fwd_len2401_factors_7_7_7_7_wgs_49_tpt_49_halfLds_half_ip_CI_unitstride_sbrr_dirReg
                                        ; -- End function
	.section	.AMDGPU.csdata,"",@progbits
; Kernel info:
; codeLenInByte = 25884
; NumSgprs: 26
; NumVgprs: 160
; ScratchSize: 0
; MemoryBound: 0
; FloatMode: 240
; IeeeMode: 1
; LDSByteSize: 0 bytes/workgroup (compile time only)
; SGPRBlocks: 3
; VGPRBlocks: 39
; NumSGPRsForWavesPerEU: 26
; NumVGPRsForWavesPerEU: 160
; Occupancy: 1
; WaveLimiterHint : 1
; COMPUTE_PGM_RSRC2:SCRATCH_EN: 0
; COMPUTE_PGM_RSRC2:USER_SGPR: 6
; COMPUTE_PGM_RSRC2:TRAP_HANDLER: 0
; COMPUTE_PGM_RSRC2:TGID_X_EN: 1
; COMPUTE_PGM_RSRC2:TGID_Y_EN: 0
; COMPUTE_PGM_RSRC2:TGID_Z_EN: 0
; COMPUTE_PGM_RSRC2:TIDIG_COMP_CNT: 0
	.type	__hip_cuid_cdaa364785b28d42,@object ; @__hip_cuid_cdaa364785b28d42
	.section	.bss,"aw",@nobits
	.globl	__hip_cuid_cdaa364785b28d42
__hip_cuid_cdaa364785b28d42:
	.byte	0                               ; 0x0
	.size	__hip_cuid_cdaa364785b28d42, 1

	.ident	"AMD clang version 19.0.0git (https://github.com/RadeonOpenCompute/llvm-project roc-6.4.0 25133 c7fe45cf4b819c5991fe208aaa96edf142730f1d)"
	.section	".note.GNU-stack","",@progbits
	.addrsig
	.addrsig_sym __hip_cuid_cdaa364785b28d42
	.amdgpu_metadata
---
amdhsa.kernels:
  - .args:
      - .actual_access:  read_only
        .address_space:  global
        .offset:         0
        .size:           8
        .value_kind:     global_buffer
      - .offset:         8
        .size:           8
        .value_kind:     by_value
      - .actual_access:  read_only
        .address_space:  global
        .offset:         16
        .size:           8
        .value_kind:     global_buffer
      - .actual_access:  read_only
        .address_space:  global
        .offset:         24
        .size:           8
        .value_kind:     global_buffer
      - .offset:         32
        .size:           8
        .value_kind:     by_value
      - .actual_access:  read_only
        .address_space:  global
        .offset:         40
        .size:           8
        .value_kind:     global_buffer
      - .actual_access:  read_only
        .address_space:  global
        .offset:         48
        .size:           8
        .value_kind:     global_buffer
      - .offset:         56
        .size:           4
        .value_kind:     by_value
      - .actual_access:  read_only
        .address_space:  global
        .offset:         64
        .size:           8
        .value_kind:     global_buffer
      - .actual_access:  read_only
        .address_space:  global
        .offset:         72
        .size:           8
        .value_kind:     global_buffer
      - .address_space:  global
        .offset:         80
        .size:           8
        .value_kind:     global_buffer
    .group_segment_fixed_size: 0
    .kernarg_segment_align: 8
    .kernarg_segment_size: 88
    .language:       OpenCL C
    .language_version:
      - 2
      - 0
    .max_flat_workgroup_size: 49
    .name:           fft_rtc_fwd_len2401_factors_7_7_7_7_wgs_49_tpt_49_halfLds_half_ip_CI_unitstride_sbrr_dirReg
    .private_segment_fixed_size: 0
    .sgpr_count:     26
    .sgpr_spill_count: 0
    .symbol:         fft_rtc_fwd_len2401_factors_7_7_7_7_wgs_49_tpt_49_halfLds_half_ip_CI_unitstride_sbrr_dirReg.kd
    .uniform_work_group_size: 1
    .uses_dynamic_stack: false
    .vgpr_count:     160
    .vgpr_spill_count: 0
    .wavefront_size: 64
amdhsa.target:   amdgcn-amd-amdhsa--gfx906
amdhsa.version:
  - 1
  - 2
...

	.end_amdgpu_metadata
